;; amdgpu-corpus repo=ROCm/rocFFT kind=compiled arch=gfx1201 opt=O3
	.text
	.amdgcn_target "amdgcn-amd-amdhsa--gfx1201"
	.amdhsa_code_object_version 6
	.protected	bluestein_single_back_len455_dim1_dp_op_CI_CI ; -- Begin function bluestein_single_back_len455_dim1_dp_op_CI_CI
	.globl	bluestein_single_back_len455_dim1_dp_op_CI_CI
	.p2align	8
	.type	bluestein_single_back_len455_dim1_dp_op_CI_CI,@function
bluestein_single_back_len455_dim1_dp_op_CI_CI: ; @bluestein_single_back_len455_dim1_dp_op_CI_CI
; %bb.0:
	s_load_b128 s[4:7], s[0:1], 0x28
	v_mul_u32_u24_e32 v1, 0x3f1, v0
	s_mov_b32 s2, exec_lo
	s_delay_alu instid0(VALU_DEP_1) | instskip(NEXT) | instid1(VALU_DEP_1)
	v_lshrrev_b32_e32 v1, 16, v1
	v_mad_co_u64_u32 v[128:129], null, ttmp9, 3, v[1:2]
	v_mov_b32_e32 v129, 0
	s_wait_kmcnt 0x0
	s_delay_alu instid0(VALU_DEP_1)
	v_cmpx_gt_u64_e64 s[4:5], v[128:129]
	s_cbranch_execz .LBB0_23
; %bb.1:
	v_mul_hi_u32 v2, 0xaaaaaaab, v128
	s_clause 0x1
	s_load_b64 s[12:13], s[0:1], 0x0
	s_load_b64 s[14:15], s[0:1], 0x38
	v_mul_lo_u16 v1, 0x41, v1
	s_delay_alu instid0(VALU_DEP_1) | instskip(NEXT) | instid1(VALU_DEP_3)
	v_sub_nc_u16 v0, v0, v1
	v_lshrrev_b32_e32 v2, 1, v2
	s_delay_alu instid0(VALU_DEP_2) | instskip(NEXT) | instid1(VALU_DEP_2)
	v_and_b32_e32 v206, 0xffff, v0
	v_lshl_add_u32 v2, v2, 1, v2
	v_cmp_gt_u16_e32 vcc_lo, 35, v0
	s_delay_alu instid0(VALU_DEP_3) | instskip(NEXT) | instid1(VALU_DEP_3)
	v_lshlrev_b32_e32 v205, 4, v206
	v_sub_nc_u32_e32 v1, v128, v2
	s_delay_alu instid0(VALU_DEP_1) | instskip(NEXT) | instid1(VALU_DEP_1)
	v_mul_u32_u24_e32 v209, 0x1c7, v1
	v_lshlrev_b32_e32 v207, 4, v209
	s_and_saveexec_b32 s3, vcc_lo
	s_cbranch_execz .LBB0_3
; %bb.2:
	s_load_b64 s[4:5], s[0:1], 0x18
	s_wait_kmcnt 0x0
	s_load_b128 s[8:11], s[4:5], 0x0
	s_wait_kmcnt 0x0
	v_mad_co_u64_u32 v[16:17], null, s8, v206, 0
	v_mad_co_u64_u32 v[0:1], null, s10, v128, 0
	s_mul_u64 s[4:5], s[8:9], 0x230
	s_delay_alu instid0(VALU_DEP_2) | instskip(NEXT) | instid1(VALU_DEP_1)
	v_mov_b32_e32 v2, v17
	v_mad_co_u64_u32 v[3:4], null, s11, v128, v[1:2]
	s_delay_alu instid0(VALU_DEP_1) | instskip(SKIP_1) | instid1(VALU_DEP_2)
	v_mov_b32_e32 v1, v3
	v_mad_co_u64_u32 v[4:5], null, s9, v206, v[2:3]
	v_lshlrev_b64_e32 v[18:19], 4, v[0:1]
	s_delay_alu instid0(VALU_DEP_2)
	v_mov_b32_e32 v17, v4
	s_clause 0x3
	global_load_b128 v[0:3], v205, s[12:13]
	global_load_b128 v[4:7], v205, s[12:13] offset:560
	global_load_b128 v[8:11], v205, s[12:13] offset:1120
	;; [unrolled: 1-line block ×3, first 2 shown]
	v_add_co_u32 v26, s2, s6, v18
	s_delay_alu instid0(VALU_DEP_1)
	v_add_co_ci_u32_e64 v27, s2, s7, v19, s2
	v_lshlrev_b64_e32 v[24:25], 4, v[16:17]
	s_clause 0x1
	global_load_b128 v[16:19], v205, s[12:13] offset:2240
	global_load_b128 v[20:23], v205, s[12:13] offset:2800
	v_add_co_u32 v40, s2, v26, v24
	s_wait_alu 0xf1ff
	v_add_co_ci_u32_e64 v41, s2, v27, v25, s2
	s_clause 0x1
	global_load_b128 v[24:27], v205, s[12:13] offset:3360
	global_load_b128 v[28:31], v205, s[12:13] offset:3920
	s_wait_alu 0xfffe
	v_add_co_u32 v44, s2, v40, s4
	s_wait_alu 0xf1ff
	v_add_co_ci_u32_e64 v45, s2, s5, v41, s2
	s_clause 0x1
	global_load_b128 v[32:35], v205, s[12:13] offset:4480
	global_load_b128 v[36:39], v205, s[12:13] offset:5040
	v_add_co_u32 v48, s2, v44, s4
	s_wait_alu 0xf1ff
	v_add_co_ci_u32_e64 v49, s2, s5, v45, s2
	s_clause 0x1
	global_load_b128 v[40:43], v[40:41], off
	global_load_b128 v[44:47], v[44:45], off
	v_add_co_u32 v52, s2, v48, s4
	s_wait_alu 0xf1ff
	v_add_co_ci_u32_e64 v53, s2, s5, v49, s2
	s_delay_alu instid0(VALU_DEP_2) | instskip(SKIP_1) | instid1(VALU_DEP_2)
	v_add_co_u32 v56, s2, v52, s4
	s_wait_alu 0xf1ff
	v_add_co_ci_u32_e64 v57, s2, s5, v53, s2
	s_clause 0x1
	global_load_b128 v[48:51], v[48:49], off
	global_load_b128 v[52:55], v[52:53], off
	v_add_co_u32 v60, s2, v56, s4
	s_wait_alu 0xf1ff
	v_add_co_ci_u32_e64 v61, s2, s5, v57, s2
	global_load_b128 v[56:59], v[56:57], off
	v_add_co_u32 v64, s2, v60, s4
	s_wait_alu 0xf1ff
	v_add_co_ci_u32_e64 v65, s2, s5, v61, s2
	;; [unrolled: 4-line block ×8, first 2 shown]
	s_clause 0x1
	global_load_b128 v[84:87], v205, s[12:13] offset:5600
	global_load_b128 v[88:91], v205, s[12:13] offset:6160
	global_load_b128 v[92:95], v[92:93], off
	global_load_b128 v[96:99], v205, s[12:13] offset:6720
	global_load_b128 v[100:103], v[100:101], off
	s_wait_loadcnt 0xf
	v_mul_f64_e32 v[104:105], v[42:43], v[2:3]
	v_mul_f64_e32 v[2:3], v[40:41], v[2:3]
	s_wait_loadcnt 0xe
	v_mul_f64_e32 v[106:107], v[46:47], v[6:7]
	v_mul_f64_e32 v[6:7], v[44:45], v[6:7]
	;; [unrolled: 3-line block ×10, first 2 shown]
	v_fma_f64 v[38:39], v[40:41], v[0:1], v[104:105]
	v_fma_f64 v[40:41], v[42:43], v[0:1], -v[2:3]
	v_fma_f64 v[0:1], v[44:45], v[4:5], v[106:107]
	v_fma_f64 v[2:3], v[46:47], v[4:5], -v[6:7]
	s_wait_loadcnt 0x4
	v_mul_f64_e32 v[126:127], v[82:83], v[86:87]
	v_mul_f64_e32 v[86:87], v[80:81], v[86:87]
	s_wait_loadcnt 0x2
	v_mul_f64_e32 v[129:130], v[94:95], v[90:91]
	v_mul_f64_e32 v[90:91], v[92:93], v[90:91]
	;; [unrolled: 3-line block ×3, first 2 shown]
	v_fma_f64 v[4:5], v[48:49], v[8:9], v[108:109]
	v_fma_f64 v[6:7], v[50:51], v[8:9], -v[10:11]
	v_fma_f64 v[8:9], v[52:53], v[12:13], v[110:111]
	v_fma_f64 v[10:11], v[54:55], v[12:13], -v[14:15]
	;; [unrolled: 2-line block ×8, first 2 shown]
	v_lshl_add_u32 v36, v206, 4, v207
	v_add_nc_u32_e32 v37, v207, v205
	v_fma_f64 v[42:43], v[80:81], v[84:85], v[126:127]
	v_fma_f64 v[44:45], v[82:83], v[84:85], -v[86:87]
	v_fma_f64 v[46:47], v[92:93], v[88:89], v[129:130]
	v_fma_f64 v[48:49], v[94:95], v[88:89], -v[90:91]
	;; [unrolled: 2-line block ×3, first 2 shown]
	ds_store_b128 v36, v[38:41]
	ds_store_b128 v37, v[0:3] offset:560
	ds_store_b128 v37, v[4:7] offset:1120
	;; [unrolled: 1-line block ×12, first 2 shown]
.LBB0_3:
	s_or_b32 exec_lo, exec_lo, s3
	global_wb scope:SCOPE_SE
	s_wait_dscnt 0x0
	s_wait_kmcnt 0x0
	s_barrier_signal -1
	s_barrier_wait -1
	global_inv scope:SCOPE_SE
                                        ; implicit-def: $vgpr12_vgpr13
                                        ; implicit-def: $vgpr32_vgpr33
                                        ; implicit-def: $vgpr40_vgpr41
                                        ; implicit-def: $vgpr48_vgpr49
                                        ; implicit-def: $vgpr56_vgpr57
                                        ; implicit-def: $vgpr60_vgpr61
                                        ; implicit-def: $vgpr52_vgpr53
                                        ; implicit-def: $vgpr44_vgpr45
                                        ; implicit-def: $vgpr36_vgpr37
                                        ; implicit-def: $vgpr28_vgpr29
                                        ; implicit-def: $vgpr24_vgpr25
                                        ; implicit-def: $vgpr16_vgpr17
                                        ; implicit-def: $vgpr20_vgpr21
	s_and_saveexec_b32 s2, vcc_lo
	s_cbranch_execz .LBB0_5
; %bb.4:
	v_lshl_add_u32 v0, v209, 4, v205
	ds_load_b128 v[12:15], v0
	ds_load_b128 v[32:35], v0 offset:560
	ds_load_b128 v[40:43], v0 offset:1120
	;; [unrolled: 1-line block ×12, first 2 shown]
.LBB0_5:
	s_wait_alu 0xfffe
	s_or_b32 exec_lo, exec_lo, s2
	s_wait_dscnt 0x0
	v_add_f64_e64 v[2:3], v[34:35], -v[22:23]
	v_add_f64_e64 v[0:1], v[32:33], -v[20:21]
	s_mov_b32 s4, 0x42a4c3d2
	s_mov_b32 s22, 0x2ef20147
	;; [unrolled: 1-line block ×12, first 2 shown]
	v_add_f64_e32 v[84:85], v[32:33], v[20:21]
	v_add_f64_e32 v[86:87], v[34:35], v[22:23]
	v_add_f64_e64 v[6:7], v[42:43], -v[18:19]
	v_add_f64_e64 v[4:5], v[40:41], -v[16:17]
	s_mov_b32 s6, 0xe00740e9
	s_mov_b32 s8, 0x1ea71119
	;; [unrolled: 1-line block ×16, first 2 shown]
	v_add_f64_e32 v[94:95], v[40:41], v[16:17]
	v_add_f64_e32 v[100:101], v[42:43], v[18:19]
	v_add_f64_e64 v[66:67], v[50:51], -v[26:27]
	v_add_f64_e64 v[68:69], v[48:49], -v[24:25]
	s_wait_alu 0xfffe
	v_mul_f64_e32 v[104:105], s[2:3], v[2:3]
	v_mul_f64_e32 v[106:107], s[2:3], v[0:1]
	v_mul_f64_e32 v[108:109], s[4:5], v[2:3]
	v_mul_f64_e32 v[110:111], s[4:5], v[0:1]
	v_mul_f64_e32 v[112:113], s[30:31], v[2:3]
	v_mul_f64_e32 v[114:115], s[30:31], v[0:1]
	v_mul_f64_e32 v[116:117], s[22:23], v[2:3]
	v_mul_f64_e32 v[118:119], s[22:23], v[0:1]
	v_mul_f64_e32 v[76:77], s[24:25], v[2:3]
	v_mul_f64_e32 v[78:79], s[24:25], v[0:1]
	v_mul_f64_e32 v[2:3], s[26:27], v[2:3]
	v_mul_f64_e32 v[0:1], s[26:27], v[0:1]
	s_mov_b32 s3, 0x3fddbe06
	s_mov_b32 s41, 0x3fedeba7
	;; [unrolled: 1-line block ×3, first 2 shown]
	v_add_f64_e32 v[96:97], v[48:49], v[24:25]
	v_mul_f64_e32 v[143:144], s[4:5], v[6:7]
	v_mul_f64_e32 v[145:146], s[4:5], v[4:5]
	;; [unrolled: 1-line block ×10, first 2 shown]
	s_wait_alu 0xfffe
	v_mul_f64_e32 v[6:7], s[2:3], v[6:7]
	v_mul_f64_e32 v[4:5], s[2:3], v[4:5]
	v_add_f64_e32 v[98:99], v[50:51], v[26:27]
	v_add_f64_e64 v[70:71], v[58:59], -v[30:31]
	v_add_f64_e64 v[72:73], v[56:57], -v[28:29]
	s_mov_b32 s39, 0x3fcea1e5
	s_mov_b32 s37, 0x3fea55e2
	;; [unrolled: 1-line block ×4, first 2 shown]
	v_add_f64_e32 v[88:89], v[56:57], v[28:29]
	v_mul_f64_e32 v[131:132], s[30:31], v[66:67]
	v_mul_f64_e32 v[135:136], s[30:31], v[68:69]
	v_fma_f64 v[80:81], v[84:85], s[6:7], v[104:105]
	v_fma_f64 v[82:83], v[86:87], s[6:7], -v[106:107]
	v_fma_f64 v[141:142], v[84:85], s[8:9], v[108:109]
	v_fma_f64 v[161:162], v[86:87], s[8:9], -v[110:111]
	v_fma_f64 v[165:166], v[84:85], s[16:17], v[112:113]
	v_fma_f64 v[171:172], v[86:87], s[16:17], -v[114:115]
	v_fma_f64 v[173:174], v[84:85], s[18:19], v[116:117]
	v_fma_f64 v[175:176], v[86:87], s[18:19], -v[118:119]
	v_fma_f64 v[179:180], v[84:85], s[20:21], -v[76:77]
	v_fma_f64 v[183:184], v[86:87], s[20:21], v[78:79]
	v_fma_f64 v[76:77], v[84:85], s[20:21], v[76:77]
	v_fma_f64 v[78:79], v[86:87], s[20:21], -v[78:79]
	v_fma_f64 v[185:186], v[84:85], s[10:11], -v[2:3]
	v_fma_f64 v[191:192], v[86:87], s[10:11], v[0:1]
	v_fma_f64 v[2:3], v[84:85], s[10:11], v[2:3]
	v_fma_f64 v[0:1], v[86:87], s[10:11], -v[0:1]
	v_mul_f64_e32 v[137:138], s[26:27], v[66:67]
	v_mul_f64_e32 v[139:140], s[26:27], v[68:69]
	;; [unrolled: 1-line block ×7, first 2 shown]
	v_fma_f64 v[193:194], v[94:95], s[8:9], v[143:144]
	v_fma_f64 v[195:196], v[100:101], s[8:9], -v[145:146]
	v_mul_f64_e32 v[169:170], s[2:3], v[68:69]
	v_fma_f64 v[197:198], v[94:95], s[18:19], v[147:148]
	v_fma_f64 v[199:200], v[100:101], s[18:19], -v[149:150]
	v_fma_f64 v[210:211], v[94:95], s[10:11], v[155:156]
	v_fma_f64 v[214:215], v[100:101], s[10:11], -v[159:160]
	;; [unrolled: 2-line block ×3, first 2 shown]
	v_fma_f64 v[222:223], v[94:95], s[16:17], -v[177:178]
	v_fma_f64 v[224:225], v[100:101], s[16:17], v[181:182]
	v_mul_f64_e32 v[66:67], s[24:25], v[66:67]
	v_fma_f64 v[177:178], v[94:95], s[16:17], v[177:178]
	v_mul_f64_e32 v[68:69], s[24:25], v[68:69]
	v_fma_f64 v[181:182], v[100:101], s[16:17], -v[181:182]
	v_add_f64_e32 v[80:81], v[12:13], v[80:81]
	v_add_f64_e32 v[82:83], v[14:15], v[82:83]
	;; [unrolled: 1-line block ×12, first 2 shown]
	v_fma_f64 v[226:227], v[94:95], s[6:7], -v[6:7]
	v_add_f64_e32 v[185:186], v[12:13], v[185:186]
	v_fma_f64 v[232:233], v[100:101], s[6:7], v[4:5]
	v_add_f64_e32 v[191:192], v[14:15], v[191:192]
	v_fma_f64 v[6:7], v[94:95], s[6:7], v[6:7]
	v_fma_f64 v[4:5], v[100:101], s[6:7], -v[4:5]
	v_add_f64_e32 v[2:3], v[12:13], v[2:3]
	v_add_f64_e32 v[0:1], v[14:15], v[0:1]
	;; [unrolled: 1-line block ×3, first 2 shown]
	v_add_f64_e64 v[10:11], v[62:63], -v[38:39]
	v_add_f64_e64 v[8:9], v[60:61], -v[36:37]
	v_mul_f64_e32 v[124:125], s[22:23], v[70:71]
	v_mul_f64_e32 v[126:127], s[22:23], v[72:73]
	;; [unrolled: 1-line block ×6, first 2 shown]
	v_fma_f64 v[228:229], v[96:97], s[16:17], v[131:132]
	v_fma_f64 v[230:231], v[98:99], s[16:17], -v[135:136]
	v_mul_f64_e32 v[173:174], s[2:3], v[72:73]
	v_fma_f64 v[234:235], v[96:97], s[8:9], -v[187:188]
	v_fma_f64 v[236:237], v[98:99], s[8:9], v[189:190]
	v_fma_f64 v[187:188], v[96:97], s[8:9], v[187:188]
	v_mul_f64_e32 v[238:239], s[38:39], v[72:73]
	v_fma_f64 v[240:241], v[98:99], s[8:9], -v[189:190]
	v_fma_f64 v[242:243], v[96:97], s[20:21], -v[66:67]
	v_add_f64_e32 v[80:81], v[193:194], v[80:81]
	v_add_f64_e32 v[82:83], v[195:196], v[82:83]
	v_fma_f64 v[193:194], v[96:97], s[10:11], v[137:138]
	v_fma_f64 v[195:196], v[98:99], s[10:11], -v[139:140]
	v_add_f64_e32 v[197:198], v[197:198], v[201:202]
	v_add_f64_e32 v[199:200], v[199:200], v[203:204]
	v_fma_f64 v[201:202], v[96:97], s[18:19], v[151:152]
	v_add_f64_e32 v[203:204], v[210:211], v[212:213]
	v_fma_f64 v[210:211], v[98:99], s[18:19], -v[153:154]
	v_add_f64_e32 v[212:213], v[214:215], v[171:172]
	v_fma_f64 v[214:215], v[96:97], s[6:7], v[157:158]
	v_add_f64_e32 v[216:217], v[216:217], v[218:219]
	v_fma_f64 v[218:219], v[98:99], s[6:7], -v[169:170]
	v_add_f64_e32 v[220:221], v[220:221], v[175:176]
	v_add_f64_e32 v[222:223], v[222:223], v[179:180]
	;; [unrolled: 1-line block ×3, first 2 shown]
	v_mul_f64_e32 v[175:176], s[30:31], v[72:73]
	v_mul_f64_e32 v[224:225], s[38:39], v[70:71]
	v_add_f64_e32 v[76:77], v[177:178], v[76:77]
	v_add_f64_e32 v[78:79], v[181:182], v[78:79]
	;; [unrolled: 1-line block ×3, first 2 shown]
	v_mul_f64_e32 v[70:71], s[36:37], v[70:71]
	v_mul_f64_e32 v[72:73], s[36:37], v[72:73]
	v_fma_f64 v[244:245], v[98:99], s[20:21], v[68:69]
	v_add_f64_e32 v[191:192], v[232:233], v[191:192]
	v_fma_f64 v[66:67], v[96:97], s[20:21], v[66:67]
	v_add_f64_e32 v[2:3], v[6:7], v[2:3]
	v_add_f64_e32 v[0:1], v[4:5], v[0:1]
	v_fma_f64 v[4:5], v[98:99], s[20:21], -v[68:69]
	v_add_f64_e32 v[92:93], v[60:61], v[36:37]
	v_add_f64_e32 v[102:103], v[62:63], v[38:39]
	v_add_f64_e64 v[64:65], v[54:55], -v[46:47]
	v_add_f64_e64 v[74:75], v[52:53], -v[44:45]
	v_mul_f64_e32 v[120:121], s[24:25], v[10:11]
	v_mul_f64_e32 v[122:123], s[24:25], v[8:9]
	;; [unrolled: 1-line block ×4, first 2 shown]
	v_fma_f64 v[226:227], v[88:89], s[18:19], v[124:125]
	v_fma_f64 v[232:233], v[90:91], s[18:19], -v[126:127]
	v_add_f64_e32 v[6:7], v[228:229], v[80:81]
	v_add_f64_e32 v[80:81], v[230:231], v[82:83]
	v_fma_f64 v[68:69], v[88:89], s[20:21], v[129:130]
	v_fma_f64 v[82:83], v[90:91], s[20:21], -v[133:134]
	v_add_f64_e32 v[197:198], v[193:194], v[197:198]
	v_add_f64_e32 v[199:200], v[195:196], v[199:200]
	v_add_f64_e32 v[201:202], v[201:202], v[203:204]
	v_mul_f64_e32 v[177:178], s[4:5], v[10:11]
	v_add_f64_e32 v[203:204], v[210:211], v[212:213]
	v_mul_f64_e32 v[179:180], s[4:5], v[8:9]
	v_add_f64_e32 v[210:211], v[214:215], v[216:217]
	v_fma_f64 v[212:213], v[88:89], s[6:7], v[165:166]
	v_add_f64_e32 v[214:215], v[218:219], v[220:221]
	v_fma_f64 v[216:217], v[90:91], s[6:7], -v[173:174]
	v_add_f64_e32 v[218:219], v[234:235], v[222:223]
	v_fma_f64 v[220:221], v[88:89], s[16:17], v[161:162]
	v_add_f64_e32 v[222:223], v[236:237], v[183:184]
	v_fma_f64 v[228:229], v[90:91], s[16:17], -v[175:176]
	v_mul_f64_e32 v[183:184], s[38:39], v[10:11]
	v_fma_f64 v[230:231], v[88:89], s[10:11], -v[224:225]
	v_add_f64_e32 v[76:77], v[187:188], v[76:77]
	v_fma_f64 v[234:235], v[90:91], s[10:11], v[238:239]
	v_mul_f64_e32 v[189:190], s[38:39], v[8:9]
	v_fma_f64 v[224:225], v[88:89], s[10:11], v[224:225]
	v_add_f64_e32 v[78:79], v[240:241], v[78:79]
	v_fma_f64 v[236:237], v[90:91], s[10:11], -v[238:239]
	v_add_f64_e32 v[238:239], v[242:243], v[185:186]
	v_mul_f64_e32 v[240:241], s[2:3], v[10:11]
	v_fma_f64 v[242:243], v[88:89], s[8:9], -v[70:71]
	v_mul_f64_e32 v[246:247], s[2:3], v[8:9]
	v_add_f64_e32 v[244:245], v[244:245], v[191:192]
	v_fma_f64 v[248:249], v[90:91], s[8:9], v[72:73]
	v_mul_f64_e32 v[10:11], s[22:23], v[10:11]
	v_add_f64_e32 v[2:3], v[66:67], v[2:3]
	v_mul_f64_e32 v[8:9], s[22:23], v[8:9]
	v_add_f64_e32 v[0:1], v[4:5], v[0:1]
	v_fma_f64 v[4:5], v[88:89], s[8:9], v[70:71]
	v_fma_f64 v[66:67], v[90:91], s[8:9], -v[72:73]
	v_add_f64_e32 v[181:182], v[52:53], v[44:45]
	v_add_f64_e32 v[195:196], v[54:55], v[46:47]
	v_mul_f64_e32 v[185:186], s[26:27], v[64:65]
	v_mul_f64_e32 v[187:188], s[26:27], v[74:75]
	v_fma_f64 v[70:71], v[92:93], s[20:21], v[120:121]
	v_fma_f64 v[72:73], v[102:103], s[20:21], -v[122:123]
	v_add_f64_e32 v[6:7], v[226:227], v[6:7]
	v_add_f64_e32 v[80:81], v[232:233], v[80:81]
	v_mul_f64_e32 v[191:192], s[2:3], v[64:65]
	v_mul_f64_e32 v[193:194], s[2:3], v[74:75]
	v_fma_f64 v[226:227], v[92:93], s[16:17], v[141:142]
	v_fma_f64 v[232:233], v[102:103], s[16:17], -v[171:172]
	v_add_f64_e32 v[68:69], v[68:69], v[197:198]
	v_add_f64_e32 v[82:83], v[82:83], v[199:200]
	;; [unrolled: 1-line block ×5, first 2 shown]
	v_fma_f64 v[220:221], v[92:93], s[8:9], v[177:178]
	v_add_f64_e32 v[214:215], v[228:229], v[214:215]
	v_fma_f64 v[228:229], v[102:103], s[8:9], -v[179:180]
	v_add_f64_e32 v[218:219], v[230:231], v[218:219]
	v_fma_f64 v[230:231], v[92:93], s[10:11], v[183:184]
	v_add_f64_e32 v[222:223], v[234:235], v[222:223]
	v_fma_f64 v[234:235], v[102:103], s[10:11], -v[189:190]
	v_add_f64_e32 v[76:77], v[224:225], v[76:77]
	v_mul_f64_e32 v[197:198], s[24:25], v[64:65]
	v_add_f64_e32 v[78:79], v[236:237], v[78:79]
	v_mul_f64_e32 v[199:200], s[24:25], v[74:75]
	v_fma_f64 v[224:225], v[92:93], s[6:7], -v[240:241]
	v_add_f64_e32 v[236:237], v[242:243], v[238:239]
	v_fma_f64 v[238:239], v[102:103], s[6:7], v[246:247]
	v_mul_f64_e32 v[201:202], s[36:37], v[64:65]
	v_fma_f64 v[240:241], v[92:93], s[6:7], v[240:241]
	v_add_f64_e32 v[242:243], v[248:249], v[244:245]
	v_fma_f64 v[244:245], v[102:103], s[6:7], -v[246:247]
	v_mul_f64_e32 v[203:204], s[36:37], v[74:75]
	v_fma_f64 v[246:247], v[92:93], s[18:19], -v[10:11]
	v_mul_f64_e32 v[248:249], s[22:23], v[64:65]
	v_fma_f64 v[250:251], v[102:103], s[18:19], v[8:9]
	v_mul_f64_e32 v[252:253], s[22:23], v[74:75]
	v_add_f64_e32 v[2:3], v[4:5], v[2:3]
	v_add_f64_e32 v[0:1], v[66:67], v[0:1]
	v_fma_f64 v[4:5], v[92:93], s[18:19], v[10:11]
	v_mul_f64_e32 v[10:11], s[28:29], v[64:65]
	v_fma_f64 v[8:9], v[102:103], s[18:19], -v[8:9]
	v_mul_f64_e32 v[64:65], s[28:29], v[74:75]
	v_fma_f64 v[66:67], v[181:182], s[10:11], v[185:186]
	v_fma_f64 v[74:75], v[195:196], s[10:11], -v[187:188]
	v_add_f64_e32 v[6:7], v[70:71], v[6:7]
	v_add_f64_e32 v[70:71], v[72:73], v[80:81]
	v_fma_f64 v[72:73], v[181:182], s[6:7], v[191:192]
	v_fma_f64 v[80:81], v[195:196], s[6:7], -v[193:194]
	v_add_f64_e32 v[68:69], v[226:227], v[68:69]
	v_add_f64_e32 v[82:83], v[232:233], v[82:83]
	s_clause 0x1
	s_load_b64 s[4:5], s[0:1], 0x20
	s_load_b64 s[2:3], s[0:1], 0x8
	v_add_f64_e32 v[212:213], v[220:221], v[212:213]
	v_mul_lo_u16 v208, v206, 13
	v_add_f64_e32 v[216:217], v[228:229], v[216:217]
	global_wb scope:SCOPE_SE
	v_add_f64_e32 v[210:211], v[230:231], v[210:211]
	s_wait_kmcnt 0x0
	s_barrier_signal -1
	v_add_f64_e32 v[214:215], v[234:235], v[214:215]
	s_barrier_wait -1
	v_fma_f64 v[220:221], v[181:182], s[20:21], v[197:198]
	global_inv scope:SCOPE_SE
	v_add_f64_e32 v[218:219], v[224:225], v[218:219]
	v_fma_f64 v[224:225], v[195:196], s[20:21], -v[199:200]
	v_add_f64_e32 v[222:223], v[238:239], v[222:223]
	v_fma_f64 v[226:227], v[181:182], s[8:9], v[201:202]
	v_add_f64_e32 v[76:77], v[240:241], v[76:77]
	v_add_f64_e32 v[78:79], v[244:245], v[78:79]
	v_fma_f64 v[228:229], v[195:196], s[8:9], -v[203:204]
	v_add_f64_e32 v[230:231], v[246:247], v[236:237]
	v_fma_f64 v[232:233], v[181:182], s[18:19], -v[248:249]
	v_add_f64_e32 v[234:235], v[250:251], v[242:243]
	v_fma_f64 v[236:237], v[195:196], s[18:19], v[252:253]
	v_fma_f64 v[238:239], v[181:182], s[18:19], v[248:249]
	v_fma_f64 v[240:241], v[195:196], s[18:19], -v[252:253]
	v_add_f64_e32 v[242:243], v[4:5], v[2:3]
	v_fma_f64 v[244:245], v[181:182], s[16:17], -v[10:11]
	v_add_f64_e32 v[246:247], v[8:9], v[0:1]
	v_fma_f64 v[248:249], v[195:196], s[16:17], v[64:65]
	v_fma_f64 v[250:251], v[181:182], s[16:17], v[10:11]
	v_fma_f64 v[252:253], v[195:196], s[16:17], -v[64:65]
	v_add_f64_e32 v[0:1], v[66:67], v[6:7]
	v_add_f64_e32 v[2:3], v[74:75], v[70:71]
	;; [unrolled: 1-line block ×16, first 2 shown]
	s_and_saveexec_b32 s0, vcc_lo
	s_cbranch_execz .LBB0_7
; %bb.6:
	v_add_f64_e32 v[34:35], v[14:15], v[34:35]
	v_add_f64_e32 v[32:33], v[12:13], v[32:33]
	v_mul_f64_e32 v[214:215], s[18:19], v[100:101]
	v_mul_f64_e32 v[216:217], s[18:19], v[94:95]
	;; [unrolled: 1-line block ×4, first 2 shown]
	v_add_f64_e32 v[34:35], v[34:35], v[42:43]
	v_add_f64_e32 v[32:33], v[32:33], v[40:41]
	v_mul_f64_e32 v[40:41], s[18:19], v[86:87]
	v_mul_f64_e32 v[42:43], s[18:19], v[84:85]
	s_delay_alu instid0(VALU_DEP_4) | instskip(NEXT) | instid1(VALU_DEP_4)
	v_add_f64_e32 v[34:35], v[34:35], v[50:51]
	v_add_f64_e32 v[32:33], v[32:33], v[48:49]
	v_mul_f64_e32 v[50:51], s[8:9], v[86:87]
	v_mul_f64_e32 v[48:49], s[16:17], v[86:87]
	v_mul_f64_e32 v[86:87], s[6:7], v[86:87]
	v_add_f64_e32 v[40:41], v[118:119], v[40:41]
	v_add_f64_e64 v[42:43], v[42:43], -v[116:117]
	v_add_f64_e32 v[116:117], v[149:150], v[214:215]
	v_add_f64_e64 v[118:119], v[216:217], -v[147:148]
	v_add_f64_e32 v[34:35], v[34:35], v[58:59]
	v_add_f64_e32 v[32:33], v[32:33], v[56:57]
	v_mul_f64_e32 v[56:57], s[8:9], v[84:85]
	v_mul_f64_e32 v[58:59], s[16:17], v[84:85]
	v_add_f64_e32 v[50:51], v[110:111], v[50:51]
	v_add_f64_e32 v[48:49], v[114:115], v[48:49]
	;; [unrolled: 1-line block ×3, first 2 shown]
	v_mul_f64_e32 v[106:107], s[10:11], v[98:99]
	v_mul_f64_e32 v[110:111], s[18:19], v[98:99]
	v_add_f64_e64 v[114:115], v[212:213], -v[155:156]
	v_add_f64_e32 v[40:41], v[14:15], v[40:41]
	v_add_f64_e32 v[42:43], v[12:13], v[42:43]
	;; [unrolled: 1-line block ×4, first 2 shown]
	v_mul_f64_e32 v[60:61], s[6:7], v[84:85]
	v_add_f64_e64 v[56:57], v[56:57], -v[108:109]
	v_add_f64_e64 v[58:59], v[58:59], -v[112:113]
	v_mul_f64_e32 v[62:63], s[20:21], v[100:101]
	v_mul_f64_e32 v[84:85], s[20:21], v[94:95]
	;; [unrolled: 1-line block ×4, first 2 shown]
	v_add_f64_e32 v[50:51], v[14:15], v[50:51]
	v_mul_f64_e32 v[108:109], s[18:19], v[96:97]
	v_add_f64_e32 v[112:113], v[159:160], v[210:211]
	v_add_f64_e32 v[48:49], v[14:15], v[48:49]
	;; [unrolled: 1-line block ×3, first 2 shown]
	v_mul_f64_e32 v[86:87], s[20:21], v[90:91]
	v_add_f64_e32 v[106:107], v[139:140], v[106:107]
	v_add_f64_e32 v[110:111], v[153:154], v[110:111]
	;; [unrolled: 1-line block ×4, first 2 shown]
	v_add_f64_e64 v[52:53], v[60:61], -v[104:105]
	v_mul_f64_e32 v[104:105], s[10:11], v[96:97]
	v_add_f64_e32 v[56:57], v[12:13], v[56:57]
	v_add_f64_e32 v[58:59], v[12:13], v[58:59]
	v_mul_f64_e32 v[54:55], s[16:17], v[96:97]
	v_mul_f64_e32 v[60:61], s[16:17], v[98:99]
	;; [unrolled: 1-line block ×4, first 2 shown]
	v_add_f64_e32 v[62:63], v[167:168], v[62:63]
	v_add_f64_e64 v[84:85], v[84:85], -v[163:164]
	v_add_f64_e32 v[100:101], v[145:146], v[100:101]
	v_add_f64_e64 v[94:95], v[94:95], -v[143:144]
	v_add_f64_e32 v[50:51], v[116:117], v[50:51]
	v_mul_f64_e32 v[143:144], s[6:7], v[88:89]
	v_mul_f64_e32 v[145:146], s[6:7], v[90:91]
	v_add_f64_e64 v[108:109], v[108:109], -v[151:152]
	v_add_f64_e32 v[48:49], v[112:113], v[48:49]
	v_add_f64_e32 v[86:87], v[133:134], v[86:87]
	v_add_f64_e32 v[34:35], v[34:35], v[46:47]
	v_add_f64_e32 v[32:33], v[32:33], v[44:45]
	v_add_f64_e32 v[12:13], v[12:13], v[52:53]
	v_mul_f64_e32 v[52:53], s[20:21], v[88:89]
	v_add_f64_e64 v[104:105], v[104:105], -v[137:138]
	v_add_f64_e32 v[56:57], v[118:119], v[56:57]
	v_add_f64_e32 v[58:59], v[114:115], v[58:59]
	v_mul_f64_e32 v[44:45], s[18:19], v[88:89]
	v_mul_f64_e32 v[46:47], s[18:19], v[90:91]
	;; [unrolled: 1-line block ×4, first 2 shown]
	v_add_f64_e32 v[98:99], v[169:170], v[98:99]
	v_add_f64_e64 v[96:97], v[96:97], -v[157:158]
	v_add_f64_e32 v[40:41], v[62:63], v[40:41]
	v_add_f64_e32 v[42:43], v[84:85], v[42:43]
	;; [unrolled: 1-line block ×3, first 2 shown]
	v_add_f64_e64 v[54:55], v[54:55], -v[131:132]
	v_add_f64_e32 v[14:15], v[100:101], v[14:15]
	v_mul_f64_e32 v[62:63], s[16:17], v[92:93]
	v_mul_f64_e32 v[84:85], s[16:17], v[102:103]
	v_add_f64_e32 v[50:51], v[106:107], v[50:51]
	v_mul_f64_e32 v[100:101], s[8:9], v[102:103]
	v_add_f64_e32 v[112:113], v[173:174], v[145:146]
	v_add_f64_e64 v[114:115], v[143:144], -v[165:166]
	v_add_f64_e32 v[48:49], v[110:111], v[48:49]
	v_mul_f64_e32 v[106:107], s[8:9], v[195:196]
	v_add_f64_e32 v[34:35], v[34:35], v[38:39]
	v_add_f64_e32 v[32:33], v[32:33], v[36:37]
	;; [unrolled: 1-line block ×3, first 2 shown]
	v_add_f64_e64 v[52:53], v[52:53], -v[129:130]
	v_mul_f64_e32 v[94:95], s[8:9], v[92:93]
	v_add_f64_e32 v[56:57], v[104:105], v[56:57]
	v_add_f64_e32 v[58:59], v[108:109], v[58:59]
	v_mul_f64_e32 v[36:37], s[20:21], v[92:93]
	v_mul_f64_e32 v[38:39], s[20:21], v[102:103]
	;; [unrolled: 1-line block ×4, first 2 shown]
	v_add_f64_e32 v[90:91], v[175:176], v[90:91]
	v_add_f64_e64 v[88:89], v[88:89], -v[161:162]
	v_add_f64_e32 v[40:41], v[98:99], v[40:41]
	v_add_f64_e32 v[42:43], v[96:97], v[42:43]
	;; [unrolled: 1-line block ×3, first 2 shown]
	v_add_f64_e64 v[44:45], v[44:45], -v[124:125]
	v_add_f64_e32 v[14:15], v[60:61], v[14:15]
	v_mul_f64_e32 v[60:61], s[6:7], v[195:196]
	v_add_f64_e32 v[84:85], v[171:172], v[84:85]
	v_add_f64_e64 v[62:63], v[62:63], -v[141:142]
	v_add_f64_e32 v[50:51], v[86:87], v[50:51]
	v_mul_f64_e32 v[96:97], s[20:21], v[181:182]
	v_mul_f64_e32 v[98:99], s[20:21], v[195:196]
	v_add_f64_e32 v[100:101], v[179:180], v[100:101]
	v_add_f64_e32 v[48:49], v[112:113], v[48:49]
	v_mul_f64_e32 v[104:105], s[8:9], v[181:182]
	v_add_f64_e32 v[30:31], v[34:35], v[30:31]
	v_add_f64_e32 v[28:29], v[32:33], v[28:29]
	v_add_f64_e32 v[12:13], v[54:55], v[12:13]
	v_mul_f64_e32 v[54:55], s[6:7], v[181:182]
	v_add_f64_e64 v[94:95], v[94:95], -v[177:178]
	v_add_f64_e32 v[52:53], v[52:53], v[56:57]
	v_add_f64_e32 v[56:57], v[114:115], v[58:59]
	v_mul_f64_e32 v[32:33], s[10:11], v[181:182]
	v_mul_f64_e32 v[34:35], s[10:11], v[195:196]
	v_add_f64_e64 v[92:93], v[92:93], -v[183:184]
	v_add_f64_e32 v[102:103], v[189:190], v[102:103]
	v_add_f64_e32 v[38:39], v[122:123], v[38:39]
	v_add_f64_e64 v[36:37], v[36:37], -v[120:121]
	v_add_f64_e32 v[40:41], v[90:91], v[40:41]
	v_add_f64_e32 v[42:43], v[88:89], v[42:43]
	;; [unrolled: 1-line block ×5, first 2 shown]
	v_add_f64_e64 v[46:47], v[96:97], -v[197:198]
	v_add_f64_e32 v[48:49], v[100:101], v[48:49]
	v_add_f64_e32 v[26:27], v[30:31], v[26:27]
	;; [unrolled: 1-line block ×4, first 2 shown]
	v_add_f64_e64 v[54:55], v[54:55], -v[191:192]
	v_add_f64_e32 v[44:45], v[199:200], v[98:99]
	v_add_f64_e32 v[52:53], v[62:63], v[52:53]
	;; [unrolled: 1-line block ×4, first 2 shown]
	v_add_f64_e64 v[30:31], v[104:105], -v[201:202]
	v_add_f64_e32 v[34:35], v[187:188], v[34:35]
	v_add_f64_e64 v[32:33], v[32:33], -v[185:186]
	v_add_f64_e32 v[40:41], v[102:103], v[40:41]
	v_add_f64_e32 v[42:43], v[92:93], v[42:43]
	;; [unrolled: 1-line block ×16, first 2 shown]
	v_and_b32_e32 v32, 0xffff, v208
	s_delay_alu instid0(VALU_DEP_1)
	v_add_lshl_u32 v32, v209, v32, 4
	ds_store_b128 v32, v[68:71] offset:96
	ds_store_b128 v32, v[72:75] offset:112
	ds_store_b128 v32, v[76:79] offset:128
	ds_store_b128 v32, v[80:83] offset:144
	ds_store_b128 v32, v[8:11] offset:160
	ds_store_b128 v32, v[4:7] offset:176
	ds_store_b128 v32, v[24:27] offset:32
	ds_store_b128 v32, v[16:19] offset:48
	ds_store_b128 v32, v[12:15] offset:64
	ds_store_b128 v32, v[64:67] offset:80
	ds_store_b128 v32, v[20:23]
	ds_store_b128 v32, v[28:31] offset:16
	ds_store_b128 v32, v[0:3] offset:192
.LBB0_7:
	s_wait_alu 0xfffe
	s_or_b32 exec_lo, exec_lo, s0
	v_add_lshl_u32 v201, v209, v206, 4
	global_wb scope:SCOPE_SE
	s_wait_dscnt 0x0
	s_barrier_signal -1
	s_barrier_wait -1
	global_inv scope:SCOPE_SE
	ds_load_b128 v[44:47], v201
	ds_load_b128 v[60:63], v201 offset:1456
	ds_load_b128 v[56:59], v201 offset:2912
	;; [unrolled: 1-line block ×4, first 2 shown]
	v_cmp_gt_u16_e64 s0, 26, v206
	s_delay_alu instid0(VALU_DEP_1)
	s_and_saveexec_b32 s1, s0
	s_cbranch_execz .LBB0_9
; %bb.8:
	ds_load_b128 v[64:67], v201 offset:1040
	ds_load_b128 v[68:71], v201 offset:2496
	;; [unrolled: 1-line block ×5, first 2 shown]
.LBB0_9:
	s_wait_alu 0xfffe
	s_or_b32 exec_lo, exec_lo, s1
	v_and_b32_e32 v12, 0xff, v206
	v_add_nc_u16 v13, v206, 0x41
	s_mov_b32 s8, 0x134454ff
	s_mov_b32 s9, 0x3fee6f0e
	;; [unrolled: 1-line block ×3, first 2 shown]
	v_mul_lo_u16 v12, 0x4f, v12
	v_and_b32_e32 v14, 0xff, v13
	s_wait_alu 0xfffe
	s_mov_b32 s6, s8
	s_mov_b32 s10, 0x4755a5e
	;; [unrolled: 1-line block ×3, first 2 shown]
	v_lshrrev_b16 v161, 10, v12
	v_mul_lo_u16 v12, 0x4f, v14
	s_mov_b32 s16, 0x372fe950
	s_mov_b32 s17, 0x3fd3c6ef
	s_delay_alu instid0(VALU_DEP_2) | instskip(NEXT) | instid1(VALU_DEP_2)
	v_mul_lo_u16 v14, v161, 13
	v_lshrrev_b16 v162, 10, v12
	s_delay_alu instid0(VALU_DEP_2) | instskip(NEXT) | instid1(VALU_DEP_2)
	v_sub_nc_u16 v12, v206, v14
	v_mul_lo_u16 v14, v162, 13
	v_and_b32_e32 v204, 0xffff, v162
	s_delay_alu instid0(VALU_DEP_3) | instskip(NEXT) | instid1(VALU_DEP_3)
	v_and_b32_e32 v163, 0xff, v12
	v_sub_nc_u16 v12, v13, v14
	s_delay_alu instid0(VALU_DEP_2) | instskip(NEXT) | instid1(VALU_DEP_2)
	v_lshlrev_b32_e32 v13, 6, v163
	v_and_b32_e32 v203, 0xff, v12
	s_clause 0x2
	global_load_b128 v[40:43], v13, s[2:3]
	global_load_b128 v[32:35], v13, s[2:3] offset:16
	global_load_b128 v[28:31], v13, s[2:3] offset:32
	v_lshlrev_b32_e32 v16, 6, v203
	s_clause 0x4
	global_load_b128 v[36:39], v13, s[2:3] offset:48
	global_load_b128 v[12:15], v16, s[2:3]
	global_load_b128 v[24:27], v16, s[2:3] offset:16
	global_load_b128 v[20:23], v16, s[2:3] offset:32
	;; [unrolled: 1-line block ×3, first 2 shown]
	s_wait_loadcnt_dscnt 0x703
	v_mul_f64_e32 v[84:85], v[62:63], v[42:43]
	v_mul_f64_e32 v[86:87], v[60:61], v[42:43]
	s_wait_loadcnt_dscnt 0x602
	v_mul_f64_e32 v[88:89], v[58:59], v[34:35]
	s_wait_loadcnt_dscnt 0x501
	v_mul_f64_e32 v[90:91], v[50:51], v[30:31]
	v_mul_f64_e32 v[92:93], v[56:57], v[34:35]
	s_wait_loadcnt_dscnt 0x400
	v_mul_f64_e32 v[94:95], v[54:55], v[38:39]
	v_mul_f64_e32 v[96:97], v[48:49], v[30:31]
	;; [unrolled: 1-line block ×3, first 2 shown]
	s_wait_loadcnt 0x3
	v_mul_f64_e32 v[100:101], v[70:71], v[14:15]
	v_mul_f64_e32 v[102:103], v[68:69], v[14:15]
	s_wait_loadcnt 0x2
	v_mul_f64_e32 v[104:105], v[74:75], v[26:27]
	s_wait_loadcnt 0x1
	;; [unrolled: 2-line block ×3, first 2 shown]
	v_mul_f64_e32 v[108:109], v[82:83], v[18:19]
	v_mul_f64_e32 v[110:111], v[72:73], v[26:27]
	;; [unrolled: 1-line block ×4, first 2 shown]
	v_fma_f64 v[116:117], v[60:61], v[40:41], -v[84:85]
	v_fma_f64 v[118:119], v[62:63], v[40:41], v[86:87]
	v_fma_f64 v[88:89], v[56:57], v[32:33], -v[88:89]
	v_fma_f64 v[120:121], v[48:49], v[28:29], -v[90:91]
	v_fma_f64 v[90:91], v[58:59], v[32:33], v[92:93]
	v_fma_f64 v[92:93], v[52:53], v[36:37], -v[94:95]
	v_fma_f64 v[94:95], v[50:51], v[28:29], v[96:97]
	v_fma_f64 v[96:97], v[54:55], v[36:37], v[98:99]
	v_fma_f64 v[58:59], v[68:69], v[12:13], -v[100:101]
	v_fma_f64 v[62:63], v[70:71], v[12:13], v[102:103]
	v_fma_f64 v[56:57], v[72:73], v[24:25], -v[104:105]
	v_fma_f64 v[50:51], v[76:77], v[20:21], -v[106:107]
	;; [unrolled: 1-line block ×3, first 2 shown]
	v_fma_f64 v[60:61], v[74:75], v[24:25], v[110:111]
	v_fma_f64 v[54:55], v[78:79], v[20:21], v[112:113]
	v_fma_f64 v[52:53], v[82:83], v[16:17], v[114:115]
	v_add_f64_e32 v[102:103], v[44:45], v[116:117]
	v_add_f64_e32 v[108:109], v[46:47], v[118:119]
	v_add_f64_e64 v[114:115], v[88:89], -v[116:117]
	v_add_f64_e32 v[68:69], v[88:89], v[120:121]
	v_add_f64_e64 v[112:113], v[88:89], -v[120:121]
	v_add_f64_e32 v[70:71], v[116:117], v[92:93]
	v_add_f64_e32 v[72:73], v[90:91], v[94:95]
	;; [unrolled: 1-line block ×3, first 2 shown]
	v_add_f64_e64 v[104:105], v[118:119], -v[96:97]
	v_add_f64_e64 v[106:107], v[90:91], -v[94:95]
	;; [unrolled: 1-line block ×3, first 2 shown]
	v_add_f64_e32 v[76:77], v[56:57], v[50:51]
	v_add_f64_e32 v[78:79], v[58:59], v[48:49]
	v_add_f64_e64 v[86:87], v[58:59], -v[48:49]
	v_add_f64_e32 v[98:99], v[60:61], v[54:55]
	v_add_f64_e32 v[100:101], v[62:63], v[52:53]
	v_add_f64_e64 v[80:81], v[62:63], -v[52:53]
	v_add_f64_e64 v[82:83], v[60:61], -v[54:55]
	;; [unrolled: 1-line block ×15, first 2 shown]
	v_add_f64_e32 v[102:103], v[102:103], v[88:89]
	v_add_f64_e32 v[108:109], v[108:109], v[90:91]
	v_fma_f64 v[68:69], v[68:69], -0.5, v[44:45]
	v_fma_f64 v[70:71], v[70:71], -0.5, v[44:45]
	v_fma_f64 v[72:73], v[72:73], -0.5, v[46:47]
	v_fma_f64 v[74:75], v[74:75], -0.5, v[46:47]
	v_fma_f64 v[44:45], v[76:77], -0.5, v[64:65]
	v_fma_f64 v[76:77], v[78:79], -0.5, v[64:65]
	v_fma_f64 v[46:47], v[98:99], -0.5, v[66:67]
	v_fma_f64 v[78:79], v[100:101], -0.5, v[66:67]
	v_add_f64_e64 v[98:99], v[116:117], -v[88:89]
	v_add_f64_e64 v[100:101], v[92:93], -v[120:121]
	;; [unrolled: 1-line block ×3, first 2 shown]
	v_add_f64_e32 v[118:119], v[118:119], v[126:127]
	v_add_f64_e32 v[88:89], v[129:130], v[131:132]
	;; [unrolled: 1-line block ×4, first 2 shown]
	v_fma_f64 v[145:146], v[104:105], s[8:9], v[68:69]
	s_wait_alu 0xfffe
	v_fma_f64 v[68:69], v[104:105], s[6:7], v[68:69]
	v_fma_f64 v[147:148], v[106:107], s[6:7], v[70:71]
	;; [unrolled: 1-line block ×13, first 2 shown]
	s_mov_b32 s7, 0xbfe2cf23
	s_mov_b32 s6, s10
	v_add_f64_e32 v[98:99], v[98:99], v[100:101]
	v_add_f64_e32 v[114:115], v[114:115], v[116:117]
	;; [unrolled: 1-line block ×7, first 2 shown]
	v_fma_f64 v[102:103], v[106:107], s[10:11], v[145:146]
	s_wait_alu 0xfffe
	v_fma_f64 v[68:69], v[106:107], s[6:7], v[68:69]
	v_fma_f64 v[106:107], v[104:105], s[10:11], v[147:148]
	;; [unrolled: 1-line block ×13, first 2 shown]
	s_load_b128 s[4:7], s[4:5], 0x0
	global_wb scope:SCOPE_SE
	s_wait_kmcnt 0x0
	s_barrier_signal -1
	s_barrier_wait -1
	global_inv scope:SCOPE_SE
	v_add_f64_e32 v[92:93], v[100:101], v[92:93]
	v_fma_f64 v[96:97], v[98:99], s[16:17], v[102:103]
	v_fma_f64 v[100:101], v[98:99], s[16:17], v[68:69]
	;; [unrolled: 1-line block ×14, first 2 shown]
	v_and_b32_e32 v112, 0xffff, v161
	s_delay_alu instid0(VALU_DEP_1) | instskip(NEXT) | instid1(VALU_DEP_1)
	v_mul_u32_u24_e32 v112, 0x41, v112
	v_add_nc_u32_e32 v112, v112, v163
	s_delay_alu instid0(VALU_DEP_1)
	v_add_lshl_u32 v210, v209, v112, 4
	ds_store_b128 v210, v[92:95]
	ds_store_b128 v210, v[96:99] offset:208
	ds_store_b128 v210, v[104:107] offset:416
	;; [unrolled: 1-line block ×4, first 2 shown]
	s_and_saveexec_b32 s1, s0
	s_cbranch_execz .LBB0_11
; %bb.10:
	v_add_f64_e32 v[62:63], v[66:67], v[62:63]
	v_add_f64_e32 v[58:59], v[64:65], v[58:59]
	v_mul_f64_e32 v[86:87], s[8:9], v[86:87]
	v_mul_f64_e32 v[64:65], s[8:9], v[80:81]
	;; [unrolled: 1-line block ×4, first 2 shown]
	v_add_f64_e32 v[60:61], v[62:63], v[60:61]
	v_add_f64_e32 v[56:57], v[58:59], v[56:57]
	v_add_f64_e64 v[46:47], v[46:47], -v[86:87]
	v_add_f64_e32 v[44:45], v[44:45], v[64:65]
	v_mul_f64_e32 v[58:59], s[16:17], v[88:89]
	v_mul_f64_e32 v[62:63], s[16:17], v[90:91]
	v_add_f64_e32 v[54:55], v[60:61], v[54:55]
	v_add_f64_e32 v[56:57], v[56:57], v[50:51]
	v_add_f64_e64 v[46:47], v[46:47], -v[80:81]
	v_add_f64_e32 v[44:45], v[66:67], v[44:45]
	s_delay_alu instid0(VALU_DEP_4) | instskip(NEXT) | instid1(VALU_DEP_4)
	v_add_f64_e32 v[50:51], v[54:55], v[52:53]
	v_add_f64_e32 v[48:49], v[56:57], v[48:49]
	s_delay_alu instid0(VALU_DEP_4) | instskip(NEXT) | instid1(VALU_DEP_4)
	v_add_f64_e32 v[46:47], v[62:63], v[46:47]
	v_add_f64_e32 v[44:45], v[58:59], v[44:45]
	v_mul_u32_u24_e32 v52, 0x41, v204
	s_delay_alu instid0(VALU_DEP_1) | instskip(NEXT) | instid1(VALU_DEP_1)
	v_add_nc_u32_e32 v52, v52, v203
	v_add_lshl_u32 v52, v209, v52, 4
	ds_store_b128 v52, v[76:79] offset:416
	ds_store_b128 v52, v[72:75] offset:624
	ds_store_b128 v52, v[48:51]
	ds_store_b128 v52, v[44:47] offset:208
	ds_store_b128 v52, v[68:71] offset:832
.LBB0_11:
	s_wait_alu 0xfffe
	s_or_b32 exec_lo, exec_lo, s1
	v_mad_co_u64_u32 v[56:57], null, 0x60, v206, s[2:3]
	global_wb scope:SCOPE_SE
	s_wait_dscnt 0x0
	s_barrier_signal -1
	s_barrier_wait -1
	global_inv scope:SCOPE_SE
	s_mov_b32 s2, 0x37e14327
	s_mov_b32 s3, 0x3fe948f6
	s_clause 0x5
	global_load_b128 v[48:51], v[56:57], off offset:832
	global_load_b128 v[44:47], v[56:57], off offset:848
	;; [unrolled: 1-line block ×6, first 2 shown]
	ds_load_b128 v[80:83], v201 offset:1040
	ds_load_b128 v[84:87], v201 offset:2080
	;; [unrolled: 1-line block ×6, first 2 shown]
	s_mov_b32 s8, 0x36b3c0b5
	s_mov_b32 s10, 0xe976ee23
	;; [unrolled: 1-line block ×8, first 2 shown]
	v_lshl_add_u32 v202, v206, 4, v207
	s_wait_loadcnt_dscnt 0x505
	v_mul_f64_e32 v[104:105], v[82:83], v[50:51]
	v_mul_f64_e32 v[106:107], v[80:81], v[50:51]
	s_wait_loadcnt_dscnt 0x404
	v_mul_f64_e32 v[108:109], v[86:87], v[46:47]
	v_mul_f64_e32 v[110:111], v[84:85], v[46:47]
	s_wait_loadcnt_dscnt 0x303
	v_mul_f64_e32 v[112:113], v[90:91], v[54:55]
	v_mul_f64_e32 v[114:115], v[88:89], v[54:55]
	s_wait_loadcnt_dscnt 0x202
	v_mul_f64_e32 v[116:117], v[94:95], v[66:67]
	v_mul_f64_e32 v[118:119], v[92:93], v[66:67]
	s_wait_loadcnt_dscnt 0x101
	v_mul_f64_e32 v[120:121], v[98:99], v[62:63]
	v_mul_f64_e32 v[122:123], v[96:97], v[62:63]
	s_wait_loadcnt_dscnt 0x0
	v_mul_f64_e32 v[124:125], v[102:103], v[58:59]
	v_mul_f64_e32 v[126:127], v[100:101], v[58:59]
	v_fma_f64 v[80:81], v[80:81], v[48:49], -v[104:105]
	v_fma_f64 v[82:83], v[82:83], v[48:49], v[106:107]
	v_fma_f64 v[84:85], v[84:85], v[44:45], -v[108:109]
	v_fma_f64 v[86:87], v[86:87], v[44:45], v[110:111]
	;; [unrolled: 2-line block ×6, first 2 shown]
	v_add_f64_e32 v[104:105], v[80:81], v[88:89]
	v_add_f64_e32 v[106:107], v[82:83], v[90:91]
	;; [unrolled: 1-line block ×4, first 2 shown]
	v_add_f64_e64 v[84:85], v[84:85], -v[92:93]
	v_add_f64_e64 v[86:87], v[86:87], -v[94:95]
	v_add_f64_e32 v[112:113], v[96:97], v[100:101]
	v_add_f64_e32 v[114:115], v[98:99], v[102:103]
	v_add_f64_e64 v[92:93], v[100:101], -v[96:97]
	v_add_f64_e64 v[94:95], v[102:103], -v[98:99]
	;; [unrolled: 1-line block ×4, first 2 shown]
	v_add_f64_e32 v[80:81], v[108:109], v[104:105]
	v_add_f64_e32 v[82:83], v[110:111], v[106:107]
	v_add_f64_e64 v[96:97], v[104:105], -v[112:113]
	v_add_f64_e64 v[98:99], v[106:107], -v[114:115]
	;; [unrolled: 1-line block ×10, first 2 shown]
	v_add_f64_e32 v[84:85], v[92:93], v[84:85]
	v_add_f64_e32 v[86:87], v[94:95], v[86:87]
	v_add_f64_e64 v[92:93], v[88:89], -v[92:93]
	v_add_f64_e64 v[94:95], v[90:91], -v[94:95]
	v_add_f64_e32 v[112:113], v[112:113], v[80:81]
	v_add_f64_e32 v[114:115], v[114:115], v[82:83]
	ds_load_b128 v[80:83], v201
	s_wait_alu 0xfffe
	v_mul_f64_e32 v[96:97], s[2:3], v[96:97]
	v_mul_f64_e32 v[98:99], s[2:3], v[98:99]
	s_mov_b32 s2, 0x429ad128
	v_mul_f64_e32 v[108:109], s[8:9], v[100:101]
	v_mul_f64_e32 v[110:111], s[8:9], v[102:103]
	;; [unrolled: 1-line block ×4, first 2 shown]
	s_mov_b32 s3, 0x3febfeb5
	s_mov_b32 s10, 0xaaaaaaaa
	s_wait_alu 0xfffe
	v_mul_f64_e32 v[124:125], s[2:3], v[120:121]
	v_mul_f64_e32 v[126:127], s[2:3], v[122:123]
	s_mov_b32 s11, 0xbff2aaaa
	v_add_f64_e32 v[84:85], v[84:85], v[88:89]
	v_add_f64_e32 v[86:87], v[86:87], v[90:91]
	s_wait_dscnt 0x0
	v_add_f64_e32 v[80:81], v[80:81], v[112:113]
	v_add_f64_e32 v[82:83], v[82:83], v[114:115]
	v_fma_f64 v[88:89], v[100:101], s[8:9], v[96:97]
	v_fma_f64 v[90:91], v[102:103], s[8:9], v[98:99]
	v_fma_f64 v[100:101], v[104:105], s[16:17], -v[108:109]
	v_fma_f64 v[102:103], v[106:107], s[16:17], -v[110:111]
	s_mov_b32 s17, 0xbfe77f67
	v_fma_f64 v[108:109], v[92:93], s[18:19], v[116:117]
	v_fma_f64 v[110:111], v[94:95], s[18:19], v[118:119]
	s_mov_b32 s19, 0xbfd5d0dc
	v_fma_f64 v[116:117], v[120:121], s[2:3], -v[116:117]
	v_fma_f64 v[118:119], v[122:123], s[2:3], -v[118:119]
	s_wait_alu 0xfffe
	v_fma_f64 v[92:93], v[92:93], s[18:19], -v[124:125]
	v_fma_f64 v[94:95], v[94:95], s[18:19], -v[126:127]
	;; [unrolled: 1-line block ×4, first 2 shown]
	s_mov_b32 s2, 0x37c3f68c
	s_mov_b32 s3, 0x3fdc38aa
	v_fma_f64 v[112:113], v[112:113], s[10:11], v[80:81]
	v_fma_f64 v[114:115], v[114:115], s[10:11], v[82:83]
	s_wait_alu 0xfffe
	v_fma_f64 v[108:109], v[84:85], s[2:3], v[108:109]
	v_fma_f64 v[110:111], v[86:87], s[2:3], v[110:111]
	;; [unrolled: 1-line block ×6, first 2 shown]
	v_add_f64_e32 v[120:121], v[88:89], v[112:113]
	v_add_f64_e32 v[122:123], v[90:91], v[114:115]
	;; [unrolled: 1-line block ×7, first 2 shown]
	v_add_f64_e64 v[86:87], v[122:123], -v[108:109]
	v_add_f64_e32 v[88:89], v[118:119], v[124:125]
	v_add_f64_e64 v[90:91], v[126:127], -v[116:117]
	v_add_f64_e64 v[92:93], v[96:97], -v[106:107]
	v_add_f64_e32 v[94:95], v[104:105], v[98:99]
	v_add_f64_e32 v[96:97], v[106:107], v[96:97]
	v_add_f64_e64 v[98:99], v[98:99], -v[104:105]
	v_add_f64_e64 v[104:105], v[124:125], -v[118:119]
	v_add_f64_e32 v[106:107], v[116:117], v[126:127]
	v_add_f64_e64 v[100:101], v[120:121], -v[110:111]
	v_add_f64_e32 v[102:103], v[108:109], v[122:123]
	ds_store_b128 v202, v[80:83]
	ds_store_b128 v202, v[84:87] offset:1040
	ds_store_b128 v202, v[88:91] offset:2080
	;; [unrolled: 1-line block ×6, first 2 shown]
	global_wb scope:SCOPE_SE
	s_wait_dscnt 0x0
	s_barrier_signal -1
	s_barrier_wait -1
	global_inv scope:SCOPE_SE
	s_and_saveexec_b32 s1, vcc_lo
	s_cbranch_execz .LBB0_13
; %bb.12:
	s_add_nc_u64 s[2:3], s[12:13], 0x1c70
	s_clause 0xc
	global_load_b128 v[108:111], v205, s[12:13] offset:7280
	global_load_b128 v[112:115], v205, s[2:3] offset:560
	;; [unrolled: 1-line block ×13, first 2 shown]
	ds_load_b128 v[161:164], v202
	ds_load_b128 v[165:168], v202 offset:560
	ds_load_b128 v[169:172], v202 offset:1120
	;; [unrolled: 1-line block ×12, first 2 shown]
	s_wait_loadcnt_dscnt 0xc0c
	v_mul_f64_e32 v[223:224], v[163:164], v[110:111]
	v_mul_f64_e32 v[110:111], v[161:162], v[110:111]
	s_wait_loadcnt_dscnt 0xb0b
	v_mul_f64_e32 v[225:226], v[167:168], v[114:115]
	v_mul_f64_e32 v[114:115], v[165:166], v[114:115]
	;; [unrolled: 3-line block ×13, first 2 shown]
	v_fma_f64 v[159:160], v[161:162], v[108:109], -v[223:224]
	v_fma_f64 v[161:162], v[163:164], v[108:109], v[110:111]
	v_fma_f64 v[108:109], v[165:166], v[112:113], -v[225:226]
	v_fma_f64 v[110:111], v[167:168], v[112:113], v[114:115]
	;; [unrolled: 2-line block ×13, first 2 shown]
	ds_store_b128 v202, v[159:162]
	ds_store_b128 v202, v[108:111] offset:560
	ds_store_b128 v202, v[112:115] offset:1120
	;; [unrolled: 1-line block ×12, first 2 shown]
.LBB0_13:
	s_wait_alu 0xfffe
	s_or_b32 exec_lo, exec_lo, s1
	global_wb scope:SCOPE_SE
	s_wait_dscnt 0x0
	s_barrier_signal -1
	s_barrier_wait -1
	global_inv scope:SCOPE_SE
	s_and_saveexec_b32 s1, vcc_lo
	s_cbranch_execz .LBB0_15
; %bb.14:
	ds_load_b128 v[80:83], v202
	ds_load_b128 v[84:87], v202 offset:560
	ds_load_b128 v[88:91], v202 offset:1120
	ds_load_b128 v[92:95], v202 offset:1680
	ds_load_b128 v[96:99], v202 offset:2240
	ds_load_b128 v[104:107], v202 offset:2800
	ds_load_b128 v[100:103], v202 offset:3360
	ds_load_b128 v[76:79], v202 offset:3920
	ds_load_b128 v[72:75], v202 offset:4480
	ds_load_b128 v[68:71], v202 offset:5040
	ds_load_b128 v[8:11], v202 offset:5600
	ds_load_b128 v[4:7], v202 offset:6160
	ds_load_b128 v[0:3], v202 offset:6720
.LBB0_15:
	s_wait_alu 0xfffe
	s_or_b32 exec_lo, exec_lo, s1
	s_wait_dscnt 0x0
	v_add_f64_e64 v[133:134], v[86:87], -v[2:3]
	s_mov_b32 s16, 0x2ef20147
	s_mov_b32 s17, 0xbfedeba7
	v_add_f64_e32 v[129:130], v[84:85], v[0:1]
	v_add_f64_e64 v[139:140], v[90:91], -v[6:7]
	s_mov_b32 s2, 0xb2365da1
	s_mov_b32 s10, 0x24c2f84
	;; [unrolled: 1-line block ×5, first 2 shown]
	s_wait_alu 0xfffe
	s_mov_b32 s18, s10
	v_add_f64_e32 v[135:136], v[88:89], v[4:5]
	v_add_f64_e32 v[153:154], v[86:87], v[2:3]
	s_mov_b32 s8, 0xd0032e0c
	s_mov_b32 s9, 0xbfe7f3cc
	v_add_f64_e64 v[173:174], v[84:85], -v[0:1]
	v_add_f64_e32 v[145:146], v[90:91], v[6:7]
	v_add_f64_e64 v[167:168], v[88:89], -v[4:5]
	v_add_f64_e64 v[155:156], v[94:95], -v[10:11]
	s_mov_b32 s22, 0x4267c47c
	s_mov_b32 s23, 0x3fddbe06
	v_add_f64_e32 v[141:142], v[92:93], v[8:9]
	v_add_f64_e32 v[163:164], v[94:95], v[10:11]
	s_mov_b32 s20, 0xe00740e9
	s_mov_b32 s21, 0x3fec55a7
	v_add_f64_e64 v[195:196], v[92:93], -v[8:9]
	v_add_f64_e64 v[183:184], v[98:99], -v[70:71]
	s_mov_b32 s28, 0x66966769
	s_mov_b32 s29, 0x3fefc445
	;; [unrolled: 1-line block ×3, first 2 shown]
	s_wait_alu 0xfffe
	s_mov_b32 s34, s28
	v_add_f64_e32 v[147:148], v[96:97], v[68:69]
	v_add_f64_e32 v[179:180], v[98:99], v[70:71]
	s_mov_b32 s24, 0xebaa3ed8
	s_mov_b32 s25, 0x3fbedb7d
	v_add_f64_e64 v[199:200], v[96:97], -v[68:69]
	v_add_f64_e64 v[191:192], v[106:107], -v[74:75]
	s_mov_b32 s30, 0x4bc48dbf
	v_mul_f64_e32 v[131:132], s[16:17], v[133:134]
	s_mov_b32 s31, 0xbfcea1e5
	s_mov_b32 s41, 0x3fcea1e5
	s_wait_alu 0xfffe
	s_mov_b32 s40, s30
	v_mul_f64_e32 v[137:138], s[18:19], v[139:140]
	v_add_f64_e32 v[157:158], v[104:105], v[72:73]
	v_add_f64_e32 v[177:178], v[106:107], v[74:75]
	s_mov_b32 s26, 0x93053d00
	s_mov_b32 s27, 0xbfef11f4
	v_add_f64_e64 v[197:198], v[104:105], -v[72:73]
	v_add_f64_e64 v[189:190], v[102:103], -v[78:79]
	s_mov_b32 s42, 0x42a4c3d2
	v_mul_f64_e32 v[161:162], s[2:3], v[153:154]
	s_mov_b32 s43, 0xbfea55e2
	s_mov_b32 s39, 0x3fea55e2
	;; [unrolled: 1-line block ×3, first 2 shown]
	v_mul_f64_e32 v[149:150], s[8:9], v[145:146]
	v_add_f64_e32 v[159:160], v[100:101], v[76:77]
	v_mul_f64_e32 v[143:144], s[22:23], v[155:156]
	v_add_f64_e32 v[169:170], v[102:103], v[78:79]
	s_mov_b32 s36, 0x1ea71119
	s_mov_b32 s37, 0x3fe22d96
	v_mul_f64_e32 v[175:176], s[20:21], v[163:164]
	v_add_f64_e64 v[193:194], v[100:101], -v[76:77]
	v_mul_f64_e32 v[116:117], s[10:11], v[133:134]
	v_mul_f64_e32 v[118:119], s[28:29], v[139:140]
	;; [unrolled: 1-line block ×5, first 2 shown]
	s_mov_b32 s47, 0xbfddbe06
	s_mov_b32 s46, s22
	;; [unrolled: 1-line block ×3, first 2 shown]
	v_mul_f64_e32 v[187:188], s[24:25], v[179:180]
	s_mov_b32 s44, s16
	global_wb scope:SCOPE_SE
	s_barrier_signal -1
	s_wait_alu 0xfffe
	v_mul_f64_e32 v[165:166], s[40:41], v[191:192]
	s_barrier_wait -1
	v_fma_f64 v[108:109], v[129:130], s[2:3], -v[131:132]
	global_inv scope:SCOPE_SE
	v_fma_f64 v[110:111], v[135:136], s[8:9], -v[137:138]
	v_mul_f64_e32 v[185:186], s[26:27], v[177:178]
	v_mul_f64_e32 v[171:172], s[38:39], v[189:190]
	v_fma_f64 v[112:113], v[167:168], s[18:19], v[149:150]
	v_mul_f64_e32 v[181:182], s[36:37], v[169:170]
	v_fma_f64 v[124:125], v[167:168], s[34:35], v[122:123]
	v_add_f64_e32 v[108:109], v[80:81], v[108:109]
	s_delay_alu instid0(VALU_DEP_1) | instskip(SKIP_1) | instid1(VALU_DEP_1)
	v_add_f64_e32 v[108:109], v[110:111], v[108:109]
	v_fma_f64 v[110:111], v[173:174], s[16:17], v[161:162]
	v_add_f64_e32 v[110:111], v[82:83], v[110:111]
	s_delay_alu instid0(VALU_DEP_1) | instskip(SKIP_1) | instid1(VALU_DEP_1)
	v_add_f64_e32 v[110:111], v[112:113], v[110:111]
	v_fma_f64 v[112:113], v[141:142], s[20:21], -v[143:144]
	v_add_f64_e32 v[108:109], v[112:113], v[108:109]
	v_fma_f64 v[112:113], v[195:196], s[22:23], v[175:176]
	s_delay_alu instid0(VALU_DEP_1) | instskip(SKIP_1) | instid1(VALU_DEP_1)
	v_add_f64_e32 v[110:111], v[112:113], v[110:111]
	v_fma_f64 v[112:113], v[147:148], s[24:25], -v[151:152]
	v_add_f64_e32 v[108:109], v[112:113], v[108:109]
	v_fma_f64 v[112:113], v[199:200], s[34:35], v[187:188]
	;; [unrolled: 5-line block ×4, first 2 shown]
	s_delay_alu instid0(VALU_DEP_1) | instskip(SKIP_4) | instid1(VALU_DEP_4)
	v_add_f64_e32 v[114:115], v[108:109], v[110:111]
	v_fma_f64 v[108:109], v[129:130], s[8:9], v[116:117]
	v_fma_f64 v[110:111], v[135:136], s[24:25], v[118:119]
	v_fma_f64 v[116:117], v[129:130], s[8:9], -v[116:117]
	v_fma_f64 v[118:119], v[135:136], s[24:25], -v[118:119]
	v_add_f64_e32 v[108:109], v[80:81], v[108:109]
	s_delay_alu instid0(VALU_DEP_3) | instskip(NEXT) | instid1(VALU_DEP_2)
	v_add_f64_e32 v[116:117], v[80:81], v[116:117]
	v_add_f64_e32 v[108:109], v[110:111], v[108:109]
	v_fma_f64 v[110:111], v[173:174], s[18:19], v[120:121]
	s_delay_alu instid0(VALU_DEP_3) | instskip(SKIP_2) | instid1(VALU_DEP_4)
	v_add_f64_e32 v[116:117], v[118:119], v[116:117]
	v_fma_f64 v[118:119], v[173:174], s[10:11], v[120:121]
	v_fma_f64 v[120:121], v[167:168], s[28:29], v[122:123]
	v_add_f64_e32 v[110:111], v[82:83], v[110:111]
	s_delay_alu instid0(VALU_DEP_3) | instskip(NEXT) | instid1(VALU_DEP_2)
	v_add_f64_e32 v[118:119], v[82:83], v[118:119]
	v_add_f64_e32 v[110:111], v[124:125], v[110:111]
	v_mul_f64_e32 v[124:125], s[42:43], v[155:156]
	s_delay_alu instid0(VALU_DEP_3) | instskip(NEXT) | instid1(VALU_DEP_2)
	v_add_f64_e32 v[118:119], v[120:121], v[118:119]
	v_fma_f64 v[126:127], v[141:142], s[36:37], v[124:125]
	v_fma_f64 v[120:121], v[141:142], s[36:37], -v[124:125]
	v_mul_f64_e32 v[124:125], s[30:31], v[133:134]
	s_delay_alu instid0(VALU_DEP_3) | instskip(SKIP_1) | instid1(VALU_DEP_4)
	v_add_f64_e32 v[108:109], v[126:127], v[108:109]
	v_mul_f64_e32 v[126:127], s[36:37], v[163:164]
	v_add_f64_e32 v[116:117], v[120:121], v[116:117]
	s_delay_alu instid0(VALU_DEP_2) | instskip(SKIP_2) | instid1(VALU_DEP_3)
	v_fma_f64 v[211:212], v[195:196], s[38:39], v[126:127]
	v_fma_f64 v[120:121], v[195:196], s[42:43], v[126:127]
	v_mul_f64_e32 v[126:127], s[22:23], v[139:140]
	v_add_f64_e32 v[110:111], v[211:212], v[110:111]
	v_mul_f64_e32 v[211:212], s[40:41], v[183:184]
	s_delay_alu instid0(VALU_DEP_4) | instskip(NEXT) | instid1(VALU_DEP_2)
	v_add_f64_e32 v[118:119], v[120:121], v[118:119]
	v_fma_f64 v[213:214], v[147:148], s[26:27], v[211:212]
	v_fma_f64 v[120:121], v[147:148], s[26:27], -v[211:212]
	v_mul_f64_e32 v[211:212], s[26:27], v[153:154]
	s_delay_alu instid0(VALU_DEP_3) | instskip(SKIP_1) | instid1(VALU_DEP_4)
	v_add_f64_e32 v[108:109], v[213:214], v[108:109]
	v_mul_f64_e32 v[213:214], s[26:27], v[179:180]
	v_add_f64_e32 v[116:117], v[120:121], v[116:117]
	s_delay_alu instid0(VALU_DEP_2) | instskip(SKIP_2) | instid1(VALU_DEP_3)
	v_fma_f64 v[215:216], v[199:200], s[30:31], v[213:214]
	v_fma_f64 v[120:121], v[199:200], s[40:41], v[213:214]
	v_mul_f64_e32 v[213:214], s[20:21], v[145:146]
	v_add_f64_e32 v[110:111], v[215:216], v[110:111]
	v_mul_f64_e32 v[215:216], s[22:23], v[191:192]
	s_delay_alu instid0(VALU_DEP_4) | instskip(NEXT) | instid1(VALU_DEP_2)
	v_add_f64_e32 v[118:119], v[120:121], v[118:119]
	v_fma_f64 v[217:218], v[157:158], s[20:21], v[215:216]
	v_fma_f64 v[120:121], v[157:158], s[20:21], -v[215:216]
	v_fma_f64 v[215:216], v[167:168], s[46:47], v[213:214]
	s_delay_alu instid0(VALU_DEP_3) | instskip(SKIP_1) | instid1(VALU_DEP_4)
	v_add_f64_e32 v[108:109], v[217:218], v[108:109]
	v_mul_f64_e32 v[217:218], s[20:21], v[177:178]
	v_add_f64_e32 v[116:117], v[120:121], v[116:117]
	s_delay_alu instid0(VALU_DEP_2) | instskip(SKIP_1) | instid1(VALU_DEP_2)
	v_fma_f64 v[219:220], v[197:198], s[46:47], v[217:218]
	v_fma_f64 v[120:121], v[197:198], s[22:23], v[217:218]
	v_add_f64_e32 v[110:111], v[219:220], v[110:111]
	v_mul_f64_e32 v[219:220], s[16:17], v[189:190]
	s_delay_alu instid0(VALU_DEP_3) | instskip(NEXT) | instid1(VALU_DEP_2)
	v_add_f64_e32 v[118:119], v[120:121], v[118:119]
	v_fma_f64 v[221:222], v[159:160], s[2:3], v[219:220]
	v_fma_f64 v[120:121], v[159:160], s[2:3], -v[219:220]
	s_delay_alu instid0(VALU_DEP_2) | instskip(SKIP_1) | instid1(VALU_DEP_3)
	v_add_f64_e32 v[108:109], v[221:222], v[108:109]
	v_mul_f64_e32 v[221:222], s[2:3], v[169:170]
	v_add_f64_e32 v[116:117], v[120:121], v[116:117]
	v_fma_f64 v[120:121], v[129:130], s[26:27], v[124:125]
	v_fma_f64 v[124:125], v[129:130], s[26:27], -v[124:125]
	s_delay_alu instid0(VALU_DEP_4) | instskip(SKIP_1) | instid1(VALU_DEP_4)
	v_fma_f64 v[122:123], v[193:194], s[16:17], v[221:222]
	v_fma_f64 v[223:224], v[193:194], s[44:45], v[221:222]
	v_add_f64_e32 v[120:121], v[80:81], v[120:121]
	s_delay_alu instid0(VALU_DEP_4) | instskip(NEXT) | instid1(VALU_DEP_4)
	v_add_f64_e32 v[124:125], v[80:81], v[124:125]
	v_add_f64_e32 v[118:119], v[122:123], v[118:119]
	v_fma_f64 v[122:123], v[135:136], s[20:21], v[126:127]
	v_fma_f64 v[126:127], v[135:136], s[20:21], -v[126:127]
	v_add_f64_e32 v[110:111], v[223:224], v[110:111]
	s_delay_alu instid0(VALU_DEP_3) | instskip(SKIP_1) | instid1(VALU_DEP_4)
	v_add_f64_e32 v[120:121], v[122:123], v[120:121]
	v_fma_f64 v[122:123], v[173:174], s[40:41], v[211:212]
	v_add_f64_e32 v[124:125], v[126:127], v[124:125]
	v_fma_f64 v[126:127], v[173:174], s[30:31], v[211:212]
	v_fma_f64 v[211:212], v[167:168], s[22:23], v[213:214]
	s_delay_alu instid0(VALU_DEP_4) | instskip(NEXT) | instid1(VALU_DEP_3)
	v_add_f64_e32 v[122:123], v[82:83], v[122:123]
	v_add_f64_e32 v[126:127], v[82:83], v[126:127]
	s_delay_alu instid0(VALU_DEP_2) | instskip(SKIP_1) | instid1(VALU_DEP_3)
	v_add_f64_e32 v[122:123], v[215:216], v[122:123]
	v_mul_f64_e32 v[215:216], s[10:11], v[155:156]
	v_add_f64_e32 v[126:127], v[211:212], v[126:127]
	s_delay_alu instid0(VALU_DEP_2) | instskip(SKIP_1) | instid1(VALU_DEP_2)
	v_fma_f64 v[217:218], v[141:142], s[8:9], v[215:216]
	v_fma_f64 v[211:212], v[141:142], s[8:9], -v[215:216]
	v_add_f64_e32 v[120:121], v[217:218], v[120:121]
	v_mul_f64_e32 v[217:218], s[8:9], v[163:164]
	s_delay_alu instid0(VALU_DEP_3) | instskip(NEXT) | instid1(VALU_DEP_2)
	v_add_f64_e32 v[124:125], v[211:212], v[124:125]
	v_fma_f64 v[219:220], v[195:196], s[18:19], v[217:218]
	v_fma_f64 v[211:212], v[195:196], s[10:11], v[217:218]
	s_delay_alu instid0(VALU_DEP_2) | instskip(SKIP_1) | instid1(VALU_DEP_3)
	v_add_f64_e32 v[122:123], v[219:220], v[122:123]
	v_mul_f64_e32 v[219:220], s[38:39], v[183:184]
	v_add_f64_e32 v[126:127], v[211:212], v[126:127]
	s_delay_alu instid0(VALU_DEP_2) | instskip(SKIP_1) | instid1(VALU_DEP_2)
	v_fma_f64 v[221:222], v[147:148], s[36:37], v[219:220]
	v_fma_f64 v[211:212], v[147:148], s[36:37], -v[219:220]
	v_add_f64_e32 v[120:121], v[221:222], v[120:121]
	v_mul_f64_e32 v[221:222], s[36:37], v[179:180]
	s_delay_alu instid0(VALU_DEP_3) | instskip(NEXT) | instid1(VALU_DEP_2)
	v_add_f64_e32 v[124:125], v[211:212], v[124:125]
	v_fma_f64 v[223:224], v[199:200], s[42:43], v[221:222]
	v_fma_f64 v[211:212], v[199:200], s[38:39], v[221:222]
	s_delay_alu instid0(VALU_DEP_2) | instskip(SKIP_1) | instid1(VALU_DEP_3)
	v_add_f64_e32 v[122:123], v[223:224], v[122:123]
	v_mul_f64_e32 v[223:224], s[16:17], v[191:192]
	v_add_f64_e32 v[126:127], v[211:212], v[126:127]
	s_delay_alu instid0(VALU_DEP_2) | instskip(SKIP_1) | instid1(VALU_DEP_2)
	v_fma_f64 v[225:226], v[157:158], s[2:3], v[223:224]
	v_fma_f64 v[211:212], v[157:158], s[2:3], -v[223:224]
	v_add_f64_e32 v[120:121], v[225:226], v[120:121]
	v_mul_f64_e32 v[225:226], s[2:3], v[177:178]
	s_delay_alu instid0(VALU_DEP_3) | instskip(NEXT) | instid1(VALU_DEP_2)
	v_add_f64_e32 v[124:125], v[211:212], v[124:125]
	v_fma_f64 v[227:228], v[197:198], s[44:45], v[225:226]
	v_fma_f64 v[211:212], v[197:198], s[16:17], v[225:226]
	s_delay_alu instid0(VALU_DEP_2) | instskip(SKIP_1) | instid1(VALU_DEP_3)
	v_add_f64_e32 v[122:123], v[227:228], v[122:123]
	v_mul_f64_e32 v[227:228], s[28:29], v[189:190]
	v_add_f64_e32 v[126:127], v[211:212], v[126:127]
	s_delay_alu instid0(VALU_DEP_2) | instskip(SKIP_1) | instid1(VALU_DEP_2)
	v_fma_f64 v[229:230], v[159:160], s[24:25], v[227:228]
	v_fma_f64 v[211:212], v[159:160], s[24:25], -v[227:228]
	v_add_f64_e32 v[120:121], v[229:230], v[120:121]
	v_mul_f64_e32 v[229:230], s[24:25], v[169:170]
	s_delay_alu instid0(VALU_DEP_3) | instskip(NEXT) | instid1(VALU_DEP_2)
	v_add_f64_e32 v[124:125], v[211:212], v[124:125]
	v_fma_f64 v[231:232], v[193:194], s[34:35], v[229:230]
	v_fma_f64 v[213:214], v[193:194], s[28:29], v[229:230]
	s_delay_alu instid0(VALU_DEP_2) | instskip(NEXT) | instid1(VALU_DEP_2)
	v_add_f64_e32 v[122:123], v[231:232], v[122:123]
	v_add_f64_e32 v[126:127], v[213:214], v[126:127]
	s_and_saveexec_b32 s1, vcc_lo
	s_cbranch_execz .LBB0_17
; %bb.16:
	v_add_f64_e32 v[86:87], v[82:83], v[86:87]
	v_add_f64_e32 v[84:85], v[80:81], v[84:85]
	v_mul_f64_e32 v[211:212], s[30:31], v[167:168]
	v_mul_f64_e32 v[213:214], s[30:31], v[139:140]
	;; [unrolled: 1-line block ×9, first 2 shown]
	v_add_f64_e32 v[86:87], v[86:87], v[90:91]
	v_add_f64_e32 v[84:85], v[84:85], v[88:89]
	v_mul_f64_e32 v[88:89], s[16:17], v[173:174]
	v_mul_f64_e32 v[90:91], s[2:3], v[129:130]
	v_fma_f64 v[231:232], v[145:146], s[2:3], v[215:216]
	v_fma_f64 v[233:234], v[135:136], s[2:3], -v[217:218]
	v_fma_f64 v[215:216], v[145:146], s[2:3], -v[215:216]
	v_fma_f64 v[217:218], v[135:136], s[2:3], v[217:218]
	v_fma_f64 v[237:238], v[135:136], s[36:37], -v[139:140]
	v_fma_f64 v[239:240], v[163:164], s[26:27], v[227:228]
	v_fma_f64 v[241:242], v[141:142], s[26:27], -v[229:230]
	v_fma_f64 v[227:228], v[163:164], s[26:27], -v[227:228]
	v_fma_f64 v[229:230], v[141:142], s[26:27], v[229:230]
	v_fma_f64 v[245:246], v[141:142], s[24:25], -v[155:156]
	v_add_f64_e32 v[86:87], v[86:87], v[94:95]
	v_add_f64_e32 v[84:85], v[84:85], v[92:93]
	v_mul_f64_e32 v[92:93], s[34:35], v[173:174]
	v_mul_f64_e32 v[94:95], s[34:35], v[133:134]
	v_add_f64_e64 v[88:89], v[161:162], -v[88:89]
	v_add_f64_e32 v[90:91], v[90:91], v[131:132]
	v_add_f64_e32 v[86:87], v[86:87], v[98:99]
	;; [unrolled: 1-line block ×3, first 2 shown]
	v_mul_f64_e32 v[96:97], s[42:43], v[173:174]
	v_mul_f64_e32 v[98:99], s[42:43], v[133:134]
	v_mul_f64_e32 v[173:174], s[46:47], v[173:174]
	v_fma_f64 v[131:132], v[153:154], s[24:25], v[92:93]
	v_fma_f64 v[161:162], v[129:130], s[24:25], -v[94:95]
	v_fma_f64 v[92:93], v[153:154], s[24:25], -v[92:93]
	v_fma_f64 v[94:95], v[129:130], s[24:25], v[94:95]
	v_add_f64_e32 v[88:89], v[82:83], v[88:89]
	v_add_f64_e32 v[90:91], v[80:81], v[90:91]
	;; [unrolled: 1-line block ×4, first 2 shown]
	v_mul_f64_e32 v[104:105], s[46:47], v[133:134]
	v_mul_f64_e32 v[106:107], s[18:19], v[167:168]
	;; [unrolled: 1-line block ×4, first 2 shown]
	v_fma_f64 v[219:220], v[153:154], s[36:37], -v[96:97]
	v_fma_f64 v[221:222], v[129:130], s[36:37], v[98:99]
	v_fma_f64 v[96:97], v[153:154], s[36:37], v[96:97]
	v_fma_f64 v[98:99], v[129:130], s[36:37], -v[98:99]
	v_fma_f64 v[223:224], v[153:154], s[20:21], v[173:174]
	v_fma_f64 v[153:154], v[153:154], s[20:21], -v[173:174]
	v_mul_f64_e32 v[173:174], s[44:45], v[195:196]
	v_add_f64_e32 v[131:132], v[82:83], v[131:132]
	v_add_f64_e32 v[92:93], v[82:83], v[92:93]
	;; [unrolled: 1-line block ×5, first 2 shown]
	v_fma_f64 v[100:101], v[129:130], s[20:21], v[104:105]
	v_fma_f64 v[102:103], v[129:130], s[20:21], -v[104:105]
	v_mul_f64_e32 v[104:105], s[20:21], v[141:142]
	v_mul_f64_e32 v[129:130], s[22:23], v[195:196]
	v_add_f64_e64 v[106:107], v[149:150], -v[106:107]
	v_add_f64_e32 v[133:134], v[133:134], v[137:138]
	v_fma_f64 v[137:138], v[145:146], s[26:27], v[211:212]
	v_fma_f64 v[149:150], v[135:136], s[26:27], -v[213:214]
	v_fma_f64 v[211:212], v[145:146], s[26:27], -v[211:212]
	v_fma_f64 v[213:214], v[135:136], s[26:27], v[213:214]
	v_fma_f64 v[235:236], v[145:146], s[36:37], v[167:168]
	v_fma_f64 v[145:146], v[145:146], s[36:37], -v[167:168]
	v_fma_f64 v[135:136], v[135:136], s[36:37], v[139:140]
	v_add_f64_e32 v[139:140], v[80:81], v[161:162]
	v_add_f64_e32 v[161:162], v[82:83], v[219:220]
	;; [unrolled: 1-line block ×5, first 2 shown]
	v_mul_f64_e32 v[195:196], s[34:35], v[195:196]
	v_add_f64_e32 v[219:220], v[82:83], v[223:224]
	v_add_f64_e32 v[82:83], v[82:83], v[153:154]
	v_mul_f64_e32 v[153:154], s[22:23], v[183:184]
	v_mul_f64_e32 v[221:222], s[18:19], v[199:200]
	;; [unrolled: 1-line block ×4, first 2 shown]
	v_add_f64_e32 v[78:79], v[86:87], v[78:79]
	v_add_f64_e32 v[76:77], v[84:85], v[76:77]
	;; [unrolled: 1-line block ×4, first 2 shown]
	v_mul_f64_e32 v[86:87], s[24:25], v[147:148]
	v_mul_f64_e32 v[100:101], s[34:35], v[199:200]
	;; [unrolled: 1-line block ×3, first 2 shown]
	v_add_f64_e64 v[129:130], v[175:176], -v[129:130]
	v_add_f64_e32 v[104:105], v[104:105], v[143:144]
	v_fma_f64 v[143:144], v[163:164], s[2:3], v[173:174]
	v_fma_f64 v[175:176], v[141:142], s[2:3], -v[225:226]
	v_fma_f64 v[173:174], v[163:164], s[2:3], -v[173:174]
	v_fma_f64 v[225:226], v[141:142], s[2:3], v[225:226]
	v_add_f64_e32 v[88:89], v[106:107], v[88:89]
	v_add_f64_e32 v[90:91], v[133:134], v[90:91]
	;; [unrolled: 1-line block ×10, first 2 shown]
	v_mul_f64_e32 v[199:200], s[16:17], v[199:200]
	v_fma_f64 v[243:244], v[163:164], s[24:25], v[195:196]
	v_add_f64_e32 v[139:140], v[235:236], v[219:220]
	v_fma_f64 v[163:164], v[163:164], s[24:25], -v[195:196]
	v_fma_f64 v[141:142], v[141:142], s[24:25], v[155:156]
	v_add_f64_e32 v[82:83], v[145:146], v[82:83]
	v_mul_f64_e32 v[145:146], s[42:43], v[191:192]
	v_mul_f64_e32 v[149:150], s[28:29], v[197:198]
	;; [unrolled: 1-line block ×4, first 2 shown]
	v_fma_f64 v[211:212], v[147:148], s[8:9], v[223:224]
	v_mul_f64_e32 v[167:168], s[10:11], v[191:192]
	v_fma_f64 v[191:192], v[179:180], s[8:9], v[221:222]
	v_fma_f64 v[195:196], v[147:148], s[8:9], -v[223:224]
	v_fma_f64 v[215:216], v[147:148], s[2:3], -v[183:184]
	v_add_f64_e32 v[74:75], v[78:79], v[74:75]
	v_add_f64_e32 v[72:73], v[76:77], v[72:73]
	;; [unrolled: 1-line block ×4, first 2 shown]
	v_mul_f64_e32 v[80:81], s[26:27], v[157:158]
	v_mul_f64_e32 v[84:85], s[40:41], v[197:198]
	;; [unrolled: 1-line block ×3, first 2 shown]
	v_add_f64_e64 v[100:101], v[187:188], -v[100:101]
	v_add_f64_e32 v[86:87], v[86:87], v[151:152]
	v_fma_f64 v[151:152], v[179:180], s[20:21], v[102:103]
	v_fma_f64 v[187:188], v[147:148], s[20:21], -v[153:154]
	v_fma_f64 v[102:103], v[179:180], s[20:21], -v[102:103]
	v_fma_f64 v[153:154], v[147:148], s[20:21], v[153:154]
	v_fma_f64 v[197:198], v[179:180], s[8:9], -v[221:222]
	v_add_f64_e32 v[88:89], v[129:130], v[88:89]
	v_add_f64_e32 v[90:91], v[104:105], v[90:91]
	v_add_f64_e32 v[104:105], v[143:144], v[106:107]
	v_add_f64_e32 v[106:107], v[175:176], v[131:132]
	v_add_f64_e32 v[92:93], v[173:174], v[92:93]
	v_add_f64_e32 v[94:95], v[225:226], v[94:95]
	v_add_f64_e32 v[129:130], v[227:228], v[133:134]
	v_add_f64_e32 v[131:132], v[229:230], v[137:138]
	v_add_f64_e32 v[96:97], v[239:240], v[96:97]
	v_add_f64_e32 v[98:99], v[241:242], v[98:99]
	v_fma_f64 v[213:214], v[179:180], s[2:3], v[199:200]
	v_add_f64_e32 v[133:134], v[243:244], v[139:140]
	v_fma_f64 v[179:180], v[179:180], s[2:3], -v[199:200]
	v_fma_f64 v[147:148], v[147:148], s[2:3], v[183:184]
	v_add_f64_e32 v[82:83], v[163:164], v[82:83]
	v_mul_f64_e32 v[139:140], s[10:11], v[189:190]
	v_mul_f64_e32 v[143:144], s[22:23], v[189:190]
	v_fma_f64 v[175:176], v[157:158], s[36:37], -v[145:146]
	v_fma_f64 v[145:146], v[157:158], s[36:37], v[145:146]
	v_fma_f64 v[183:184], v[177:178], s[24:25], v[149:150]
	v_fma_f64 v[149:150], v[177:178], s[24:25], -v[149:150]
	v_mul_f64_e32 v[137:138], s[10:11], v[193:194]
	v_mul_f64_e32 v[173:174], s[30:31], v[189:190]
	v_fma_f64 v[189:190], v[177:178], s[8:9], v[161:162]
	v_add_f64_e32 v[70:71], v[74:75], v[70:71]
	v_add_f64_e32 v[68:69], v[72:73], v[68:69]
	;; [unrolled: 1-line block ×4, first 2 shown]
	v_mul_f64_e32 v[76:77], s[36:37], v[159:160]
	v_mul_f64_e32 v[78:79], s[38:39], v[193:194]
	;; [unrolled: 1-line block ×3, first 2 shown]
	v_add_f64_e64 v[84:85], v[185:186], -v[84:85]
	v_add_f64_e32 v[80:81], v[80:81], v[165:166]
	v_fma_f64 v[165:166], v[177:178], s[36:37], v[135:136]
	v_fma_f64 v[135:136], v[177:178], s[36:37], -v[135:136]
	v_fma_f64 v[185:186], v[157:158], s[24:25], -v[155:156]
	v_fma_f64 v[155:156], v[157:158], s[24:25], v[155:156]
	v_mul_f64_e32 v[163:164], s[30:31], v[193:194]
	v_add_f64_e32 v[88:89], v[100:101], v[88:89]
	v_add_f64_e32 v[86:87], v[86:87], v[90:91]
	;; [unrolled: 1-line block ×10, first 2 shown]
	v_fma_f64 v[193:194], v[157:158], s[8:9], -v[167:168]
	v_add_f64_e32 v[106:107], v[213:214], v[133:134]
	v_fma_f64 v[161:162], v[177:178], s[8:9], -v[161:162]
	v_fma_f64 v[157:158], v[157:158], s[8:9], v[167:168]
	v_add_f64_e32 v[82:83], v[179:180], v[82:83]
	v_fma_f64 v[131:132], v[159:160], s[8:9], v[139:140]
	v_fma_f64 v[129:130], v[169:170], s[8:9], -v[137:138]
	v_fma_f64 v[153:154], v[159:160], s[26:27], v[173:174]
	v_add_f64_e32 v[10:11], v[70:71], v[10:11]
	v_add_f64_e32 v[8:9], v[68:69], v[8:9]
	;; [unrolled: 1-line block ×5, first 2 shown]
	v_add_f64_e64 v[72:73], v[181:182], -v[78:79]
	v_fma_f64 v[78:79], v[159:160], s[8:9], -v[139:140]
	v_fma_f64 v[133:134], v[169:170], s[20:21], v[141:142]
	v_fma_f64 v[139:140], v[169:170], s[20:21], -v[141:142]
	v_fma_f64 v[141:142], v[159:160], s[20:21], v[143:144]
	v_fma_f64 v[76:77], v[169:170], s[8:9], v[137:138]
	v_fma_f64 v[137:138], v[159:160], s[20:21], -v[143:144]
	v_fma_f64 v[147:148], v[159:160], s[26:27], -v[173:174]
	;; [unrolled: 1-line block ×3, first 2 shown]
	v_add_f64_e32 v[84:85], v[84:85], v[88:89]
	v_add_f64_e32 v[80:81], v[80:81], v[86:87]
	;; [unrolled: 1-line block ×10, first 2 shown]
	v_fma_f64 v[143:144], v[169:170], s[26:27], v[163:164]
	v_add_f64_e32 v[102:103], v[189:190], v[106:107]
	v_add_f64_e32 v[104:105], v[161:162], v[82:83]
	;; [unrolled: 1-line block ×16, first 2 shown]
	v_and_b32_e32 v88, 0xffff, v208
	v_add_f64_e32 v[82:83], v[143:144], v[102:103]
	v_add_f64_e32 v[86:87], v[151:152], v[104:105]
	s_delay_alu instid0(VALU_DEP_3)
	v_lshl_add_u32 v88, v88, 4, v207
	v_add_f64_e32 v[2:3], v[106:107], v[2:3]
	v_add_f64_e32 v[0:1], v[135:136], v[0:1]
	;; [unrolled: 1-line block ×4, first 2 shown]
	ds_store_b128 v88, v[120:123] offset:96
	ds_store_b128 v88, v[124:127] offset:112
	;; [unrolled: 1-line block ×10, first 2 shown]
	ds_store_b128 v88, v[0:3]
	ds_store_b128 v88, v[84:87] offset:16
	ds_store_b128 v88, v[80:83] offset:192
.LBB0_17:
	s_wait_alu 0xfffe
	s_or_b32 exec_lo, exec_lo, s1
	global_wb scope:SCOPE_SE
	s_wait_dscnt 0x0
	s_barrier_signal -1
	s_barrier_wait -1
	global_inv scope:SCOPE_SE
	ds_load_b128 v[0:3], v201
	ds_load_b128 v[72:75], v201 offset:1456
	ds_load_b128 v[4:7], v201 offset:2912
	;; [unrolled: 1-line block ×4, first 2 shown]
	s_and_saveexec_b32 s1, s0
	s_cbranch_execz .LBB0_19
; %bb.18:
	ds_load_b128 v[108:111], v201 offset:1040
	ds_load_b128 v[120:123], v201 offset:2496
	;; [unrolled: 1-line block ×5, first 2 shown]
.LBB0_19:
	s_wait_alu 0xfffe
	s_or_b32 exec_lo, exec_lo, s1
	s_wait_dscnt 0x3
	v_mul_f64_e32 v[76:77], v[42:43], v[74:75]
	s_wait_dscnt 0x2
	v_mul_f64_e32 v[78:79], v[34:35], v[6:7]
	;; [unrolled: 2-line block ×3, first 2 shown]
	v_mul_f64_e32 v[42:43], v[42:43], v[72:73]
	s_wait_dscnt 0x0
	v_mul_f64_e32 v[82:83], v[38:39], v[70:71]
	v_mul_f64_e32 v[34:35], v[34:35], v[4:5]
	;; [unrolled: 1-line block ×4, first 2 shown]
	s_mov_b32 s2, 0x134454ff
	s_mov_b32 s3, 0xbfee6f0e
	;; [unrolled: 1-line block ×3, first 2 shown]
	s_wait_alu 0xfffe
	s_mov_b32 s8, s2
	s_mov_b32 s16, 0x4755a5e
	;; [unrolled: 1-line block ×4, first 2 shown]
	s_wait_alu 0xfffe
	s_mov_b32 s10, s16
	s_mov_b32 s18, 0x372fe950
	;; [unrolled: 1-line block ×3, first 2 shown]
	global_wb scope:SCOPE_SE
	s_barrier_signal -1
	s_barrier_wait -1
	global_inv scope:SCOPE_SE
	v_fma_f64 v[72:73], v[40:41], v[72:73], v[76:77]
	v_fma_f64 v[4:5], v[32:33], v[4:5], v[78:79]
	;; [unrolled: 1-line block ×3, first 2 shown]
	v_fma_f64 v[40:41], v[40:41], v[74:75], -v[42:43]
	v_fma_f64 v[42:43], v[36:37], v[68:69], v[82:83]
	v_fma_f64 v[6:7], v[32:33], v[6:7], -v[34:35]
	v_fma_f64 v[10:11], v[28:29], v[10:11], -v[30:31]
	;; [unrolled: 1-line block ×3, first 2 shown]
	v_add_f64_e32 v[38:39], v[0:1], v[72:73]
	v_add_f64_e32 v[30:31], v[4:5], v[8:9]
	;; [unrolled: 1-line block ×4, first 2 shown]
	v_add_f64_e64 v[76:77], v[72:73], -v[42:43]
	v_add_f64_e32 v[34:35], v[6:7], v[10:11]
	v_add_f64_e32 v[36:37], v[40:41], v[28:29]
	v_add_f64_e64 v[68:69], v[40:41], -v[28:29]
	v_add_f64_e64 v[70:71], v[6:7], -v[10:11]
	;; [unrolled: 1-line block ×8, first 2 shown]
	v_fma_f64 v[30:31], v[30:31], -0.5, v[0:1]
	v_add_f64_e32 v[6:7], v[74:75], v[6:7]
	v_fma_f64 v[0:1], v[32:33], -0.5, v[0:1]
	v_add_f64_e64 v[32:33], v[4:5], -v[8:9]
	v_fma_f64 v[34:35], v[34:35], -0.5, v[2:3]
	v_fma_f64 v[2:3], v[36:37], -0.5, v[2:3]
	v_add_f64_e64 v[36:37], v[72:73], -v[4:5]
	v_add_f64_e64 v[72:73], v[4:5], -v[72:73]
	v_add_f64_e32 v[4:5], v[38:39], v[4:5]
	v_add_f64_e32 v[40:41], v[40:41], v[86:87]
	v_fma_f64 v[38:39], v[68:69], s[2:3], v[30:31]
	v_fma_f64 v[30:31], v[68:69], s[8:9], v[30:31]
	;; [unrolled: 1-line block ×8, first 2 shown]
	v_add_f64_e32 v[4:5], v[4:5], v[8:9]
	v_add_f64_e32 v[6:7], v[6:7], v[10:11]
	;; [unrolled: 1-line block ×5, first 2 shown]
	v_fma_f64 v[8:9], v[70:71], s[16:17], v[38:39]
	s_wait_alu 0xfffe
	v_fma_f64 v[10:11], v[70:71], s[10:11], v[30:31]
	v_fma_f64 v[30:31], v[68:69], s[16:17], v[74:75]
	;; [unrolled: 1-line block ×7, first 2 shown]
	v_add_f64_e32 v[0:1], v[4:5], v[42:43]
	v_add_f64_e32 v[2:3], v[6:7], v[28:29]
	v_fma_f64 v[4:5], v[36:37], s[18:19], v[8:9]
	v_fma_f64 v[8:9], v[36:37], s[18:19], v[10:11]
	;; [unrolled: 1-line block ×8, first 2 shown]
	ds_store_b128 v210, v[0:3]
	ds_store_b128 v210, v[4:7] offset:208
	ds_store_b128 v210, v[28:31] offset:416
	;; [unrolled: 1-line block ×4, first 2 shown]
	s_and_saveexec_b32 s1, s0
	s_cbranch_execz .LBB0_21
; %bb.20:
	v_mul_f64_e32 v[0:1], v[26:27], v[124:125]
	v_mul_f64_e32 v[2:3], v[14:15], v[120:121]
	;; [unrolled: 1-line block ×8, first 2 shown]
	v_fma_f64 v[0:1], v[24:25], v[126:127], -v[0:1]
	v_fma_f64 v[2:3], v[12:13], v[122:123], -v[2:3]
	;; [unrolled: 1-line block ×4, first 2 shown]
	v_fma_f64 v[8:9], v[24:25], v[124:125], v[8:9]
	v_fma_f64 v[10:11], v[20:21], v[116:117], v[10:11]
	;; [unrolled: 1-line block ×4, first 2 shown]
	v_add_f64_e32 v[28:29], v[110:111], v[2:3]
	v_add_f64_e32 v[16:17], v[2:3], v[4:5]
	;; [unrolled: 1-line block ×3, first 2 shown]
	v_add_f64_e64 v[32:33], v[2:3], -v[4:5]
	v_add_f64_e32 v[20:21], v[8:9], v[10:11]
	v_add_f64_e32 v[30:31], v[108:109], v[12:13]
	;; [unrolled: 1-line block ×3, first 2 shown]
	v_add_f64_e64 v[24:25], v[8:9], -v[10:11]
	v_add_f64_e64 v[26:27], v[12:13], -v[14:15]
	;; [unrolled: 1-line block ×11, first 2 shown]
	v_add_f64_e32 v[0:1], v[28:29], v[0:1]
	v_fma_f64 v[16:17], v[16:17], -0.5, v[110:111]
	v_fma_f64 v[18:19], v[18:19], -0.5, v[110:111]
	;; [unrolled: 1-line block ×3, first 2 shown]
	v_add_f64_e32 v[8:9], v[30:31], v[8:9]
	v_fma_f64 v[22:23], v[22:23], -0.5, v[108:109]
	v_add_f64_e32 v[36:37], v[36:37], v[38:39]
	v_add_f64_e32 v[38:39], v[2:3], v[40:41]
	;; [unrolled: 1-line block ×5, first 2 shown]
	v_fma_f64 v[28:29], v[24:25], s[8:9], v[16:17]
	v_fma_f64 v[16:17], v[24:25], s[2:3], v[16:17]
	;; [unrolled: 1-line block ×8, first 2 shown]
	v_add_f64_e32 v[6:7], v[8:9], v[10:11]
	v_add_f64_e32 v[2:3], v[0:1], v[4:5]
	v_fma_f64 v[8:9], v[26:27], s[16:17], v[28:29]
	v_fma_f64 v[10:11], v[26:27], s[10:11], v[16:17]
	;; [unrolled: 1-line block ×8, first 2 shown]
	v_add_f64_e32 v[0:1], v[6:7], v[14:15]
	v_fma_f64 v[6:7], v[36:37], s[18:19], v[8:9]
	v_fma_f64 v[10:11], v[36:37], s[18:19], v[10:11]
	;; [unrolled: 1-line block ×8, first 2 shown]
	v_mul_u32_u24_e32 v20, 0x41, v204
	s_delay_alu instid0(VALU_DEP_1) | instskip(NEXT) | instid1(VALU_DEP_1)
	v_add_nc_u32_e32 v20, v20, v203
	v_lshl_add_u32 v20, v20, 4, v207
	ds_store_b128 v20, v[0:3]
	ds_store_b128 v20, v[16:19] offset:208
	ds_store_b128 v20, v[8:11] offset:416
	;; [unrolled: 1-line block ×4, first 2 shown]
.LBB0_21:
	s_wait_alu 0xfffe
	s_or_b32 exec_lo, exec_lo, s1
	global_wb scope:SCOPE_SE
	s_wait_dscnt 0x0
	s_barrier_signal -1
	s_barrier_wait -1
	global_inv scope:SCOPE_SE
	ds_load_b128 v[0:3], v201 offset:1040
	ds_load_b128 v[4:7], v201 offset:2080
	;; [unrolled: 1-line block ×6, first 2 shown]
	s_mov_b32 s0, 0x37e14327
	s_mov_b32 s1, 0x3fe948f6
	;; [unrolled: 1-line block ×10, first 2 shown]
	s_wait_dscnt 0x5
	v_mul_f64_e32 v[24:25], v[50:51], v[2:3]
	v_mul_f64_e32 v[26:27], v[50:51], v[0:1]
	s_wait_dscnt 0x4
	v_mul_f64_e32 v[28:29], v[46:47], v[6:7]
	v_mul_f64_e32 v[30:31], v[46:47], v[4:5]
	;; [unrolled: 3-line block ×6, first 2 shown]
	v_fma_f64 v[0:1], v[48:49], v[0:1], v[24:25]
	v_fma_f64 v[2:3], v[48:49], v[2:3], -v[26:27]
	v_fma_f64 v[4:5], v[44:45], v[4:5], v[28:29]
	v_fma_f64 v[6:7], v[44:45], v[6:7], -v[30:31]
	;; [unrolled: 2-line block ×6, first 2 shown]
	v_add_f64_e32 v[24:25], v[0:1], v[8:9]
	v_add_f64_e32 v[26:27], v[2:3], v[10:11]
	v_add_f64_e32 v[28:29], v[4:5], v[12:13]
	v_add_f64_e32 v[30:31], v[6:7], v[14:15]
	v_add_f64_e64 v[4:5], v[4:5], -v[12:13]
	v_add_f64_e64 v[6:7], v[6:7], -v[14:15]
	v_add_f64_e32 v[32:33], v[16:17], v[20:21]
	v_add_f64_e32 v[34:35], v[18:19], v[22:23]
	v_add_f64_e64 v[12:13], v[20:21], -v[16:17]
	v_add_f64_e64 v[14:15], v[22:23], -v[18:19]
	;; [unrolled: 1-line block ×4, first 2 shown]
	v_add_f64_e32 v[0:1], v[28:29], v[24:25]
	v_add_f64_e32 v[2:3], v[30:31], v[26:27]
	v_add_f64_e64 v[16:17], v[24:25], -v[32:33]
	v_add_f64_e64 v[18:19], v[26:27], -v[34:35]
	;; [unrolled: 1-line block ×10, first 2 shown]
	v_add_f64_e32 v[4:5], v[12:13], v[4:5]
	v_add_f64_e32 v[6:7], v[14:15], v[6:7]
	v_add_f64_e64 v[12:13], v[8:9], -v[12:13]
	v_add_f64_e64 v[14:15], v[10:11], -v[14:15]
	v_add_f64_e32 v[32:33], v[32:33], v[0:1]
	v_add_f64_e32 v[34:35], v[34:35], v[2:3]
	ds_load_b128 v[0:3], v201
	s_wait_alu 0xfffe
	v_mul_f64_e32 v[16:17], s[0:1], v[16:17]
	v_mul_f64_e32 v[18:19], s[0:1], v[18:19]
	s_mov_b32 s0, 0x429ad128
	v_mul_f64_e32 v[28:29], s[2:3], v[20:21]
	v_mul_f64_e32 v[30:31], s[2:3], v[22:23]
	;; [unrolled: 1-line block ×4, first 2 shown]
	s_mov_b32 s1, 0xbfebfeb5
	s_mov_b32 s8, 0xaaaaaaaa
	s_wait_alu 0xfffe
	v_mul_f64_e32 v[44:45], s[0:1], v[40:41]
	v_mul_f64_e32 v[46:47], s[0:1], v[42:43]
	s_mov_b32 s9, 0xbff2aaaa
	v_add_f64_e32 v[4:5], v[4:5], v[8:9]
	v_add_f64_e32 v[6:7], v[6:7], v[10:11]
	s_wait_dscnt 0x0
	v_add_f64_e32 v[0:1], v[0:1], v[32:33]
	v_add_f64_e32 v[2:3], v[2:3], v[34:35]
	v_fma_f64 v[8:9], v[20:21], s[2:3], v[16:17]
	v_fma_f64 v[10:11], v[22:23], s[2:3], v[18:19]
	v_fma_f64 v[20:21], v[24:25], s[10:11], -v[28:29]
	v_fma_f64 v[22:23], v[26:27], s[10:11], -v[30:31]
	s_mov_b32 s11, 0xbfe77f67
	v_fma_f64 v[28:29], v[12:13], s[16:17], v[36:37]
	v_fma_f64 v[30:31], v[14:15], s[16:17], v[38:39]
	s_mov_b32 s17, 0x3fd5d0dc
	v_fma_f64 v[36:37], v[40:41], s[0:1], -v[36:37]
	v_fma_f64 v[38:39], v[42:43], s[0:1], -v[38:39]
	s_wait_alu 0xfffe
	v_fma_f64 v[12:13], v[12:13], s[16:17], -v[44:45]
	v_fma_f64 v[14:15], v[14:15], s[16:17], -v[46:47]
	;; [unrolled: 1-line block ×4, first 2 shown]
	s_mov_b32 s0, 0x37c3f68c
	s_mov_b32 s1, 0xbfdc38aa
	v_fma_f64 v[32:33], v[32:33], s[8:9], v[0:1]
	v_fma_f64 v[34:35], v[34:35], s[8:9], v[2:3]
	s_wait_alu 0xfffe
	v_fma_f64 v[26:27], v[4:5], s[0:1], v[28:29]
	v_fma_f64 v[24:25], v[6:7], s[0:1], v[30:31]
	;; [unrolled: 1-line block ×6, first 2 shown]
	v_add_f64_e32 v[40:41], v[8:9], v[32:33]
	v_add_f64_e32 v[42:43], v[10:11], v[34:35]
	;; [unrolled: 1-line block ×7, first 2 shown]
	v_add_f64_e64 v[6:7], v[42:43], -v[26:27]
	v_add_f64_e32 v[8:9], v[38:39], v[44:45]
	v_add_f64_e64 v[10:11], v[46:47], -v[36:37]
	v_add_f64_e64 v[12:13], v[16:17], -v[30:31]
	v_add_f64_e32 v[14:15], v[28:29], v[18:19]
	v_add_f64_e32 v[16:17], v[30:31], v[16:17]
	v_add_f64_e64 v[18:19], v[18:19], -v[28:29]
	v_add_f64_e64 v[20:21], v[44:45], -v[38:39]
	v_add_f64_e32 v[22:23], v[36:37], v[46:47]
	v_add_f64_e64 v[24:25], v[40:41], -v[24:25]
	v_add_f64_e32 v[26:27], v[26:27], v[42:43]
	ds_store_b128 v202, v[0:3]
	ds_store_b128 v202, v[4:7] offset:1040
	ds_store_b128 v202, v[8:11] offset:2080
	;; [unrolled: 1-line block ×6, first 2 shown]
	global_wb scope:SCOPE_SE
	s_wait_dscnt 0x0
	s_barrier_signal -1
	s_barrier_wait -1
	global_inv scope:SCOPE_SE
	s_and_b32 exec_lo, exec_lo, vcc_lo
	s_cbranch_execz .LBB0_23
; %bb.22:
	s_clause 0xb
	global_load_b128 v[0:3], v205, s[12:13]
	global_load_b128 v[4:7], v205, s[12:13] offset:560
	global_load_b128 v[8:11], v205, s[12:13] offset:1120
	;; [unrolled: 1-line block ×11, first 2 shown]
	v_mad_co_u64_u32 v[80:81], null, s6, v128, 0
	v_mad_co_u64_u32 v[96:97], null, s4, v206, 0
	s_mul_u64 s[0:1], s[4:5], 0x230
	s_mov_b32 s2, 0x12012012
	s_mov_b32 s3, 0x3f620120
	s_delay_alu instid0(VALU_DEP_2) | instskip(NEXT) | instid1(VALU_DEP_2)
	v_mov_b32_e32 v48, v81
	v_mov_b32_e32 v56, v97
	s_delay_alu instid0(VALU_DEP_2)
	v_mad_co_u64_u32 v[64:65], null, s7, v128, v[48:49]
	ds_load_b128 v[48:51], v202
	ds_load_b128 v[52:55], v202 offset:560
	v_mad_co_u64_u32 v[82:83], null, s5, v206, v[56:57]
	ds_load_b128 v[56:59], v202 offset:1120
	ds_load_b128 v[60:63], v202 offset:1680
	v_mov_b32_e32 v81, v64
	ds_load_b128 v[64:67], v202 offset:2240
	ds_load_b128 v[68:71], v202 offset:2800
	;; [unrolled: 1-line block ×4, first 2 shown]
	v_mov_b32_e32 v97, v82
	v_lshlrev_b64_e32 v[98:99], 4, v[80:81]
	ds_load_b128 v[80:83], v202 offset:4480
	ds_load_b128 v[84:87], v202 offset:5040
	;; [unrolled: 1-line block ×4, first 2 shown]
	v_lshlrev_b64_e32 v[96:97], 4, v[96:97]
	v_add_co_u32 v122, vcc_lo, s14, v98
	v_add_co_ci_u32_e32 v123, vcc_lo, s15, v99, vcc_lo
	s_delay_alu instid0(VALU_DEP_2) | instskip(SKIP_1) | instid1(VALU_DEP_2)
	v_add_co_u32 v96, vcc_lo, v122, v96
	s_wait_alu 0xfffd
	v_add_co_ci_u32_e32 v97, vcc_lo, v123, v97, vcc_lo
	s_wait_alu 0xfffe
	s_delay_alu instid0(VALU_DEP_2) | instskip(SKIP_1) | instid1(VALU_DEP_2)
	v_add_co_u32 v122, vcc_lo, v96, s0
	s_wait_alu 0xfffd
	v_add_co_ci_u32_e32 v123, vcc_lo, s1, v97, vcc_lo
	s_delay_alu instid0(VALU_DEP_2) | instskip(SKIP_1) | instid1(VALU_DEP_2)
	v_add_co_u32 v124, vcc_lo, v122, s0
	s_wait_alu 0xfffd
	v_add_co_ci_u32_e32 v125, vcc_lo, s1, v123, vcc_lo
	s_wait_loadcnt_dscnt 0xb0b
	v_mul_f64_e32 v[98:99], v[50:51], v[2:3]
	v_mul_f64_e32 v[2:3], v[48:49], v[2:3]
	s_wait_loadcnt_dscnt 0xa0a
	v_mul_f64_e32 v[100:101], v[54:55], v[6:7]
	v_mul_f64_e32 v[6:7], v[52:53], v[6:7]
	;; [unrolled: 3-line block ×12, first 2 shown]
	v_fma_f64 v[48:49], v[48:49], v[0:1], v[98:99]
	v_fma_f64 v[2:3], v[0:1], v[50:51], -v[2:3]
	v_fma_f64 v[50:51], v[52:53], v[4:5], v[100:101]
	v_fma_f64 v[6:7], v[4:5], v[54:55], -v[6:7]
	v_fma_f64 v[52:53], v[56:57], v[8:9], v[102:103]
	v_fma_f64 v[10:11], v[8:9], v[58:59], -v[10:11]
	v_fma_f64 v[54:55], v[60:61], v[12:13], v[104:105]
	v_fma_f64 v[14:15], v[12:13], v[62:63], -v[14:15]
	v_fma_f64 v[56:57], v[64:65], v[16:17], v[106:107]
	v_fma_f64 v[18:19], v[16:17], v[66:67], -v[18:19]
	v_fma_f64 v[58:59], v[68:69], v[20:21], v[108:109]
	v_fma_f64 v[22:23], v[20:21], v[70:71], -v[22:23]
	v_fma_f64 v[60:61], v[72:73], v[24:25], v[110:111]
	v_fma_f64 v[26:27], v[24:25], v[74:75], -v[26:27]
	v_fma_f64 v[62:63], v[76:77], v[28:29], v[112:113]
	v_fma_f64 v[30:31], v[28:29], v[78:79], -v[30:31]
	v_fma_f64 v[64:65], v[80:81], v[32:33], v[114:115]
	v_fma_f64 v[34:35], v[32:33], v[82:83], -v[34:35]
	v_fma_f64 v[66:67], v[84:85], v[36:37], v[116:117]
	v_fma_f64 v[38:39], v[36:37], v[86:87], -v[38:39]
	v_fma_f64 v[68:69], v[88:89], v[40:41], v[118:119]
	v_fma_f64 v[42:43], v[40:41], v[90:91], -v[42:43]
	v_fma_f64 v[70:71], v[92:93], v[44:45], v[120:121]
	v_fma_f64 v[46:47], v[44:45], v[94:95], -v[46:47]
	v_add_co_u32 v72, vcc_lo, v124, s0
	s_wait_alu 0xfffd
	v_add_co_ci_u32_e32 v73, vcc_lo, s1, v125, vcc_lo
	s_delay_alu instid0(VALU_DEP_2) | instskip(SKIP_1) | instid1(VALU_DEP_2)
	v_add_co_u32 v74, vcc_lo, v72, s0
	s_wait_alu 0xfffd
	v_add_co_ci_u32_e32 v75, vcc_lo, s1, v73, vcc_lo
	s_delay_alu instid0(VALU_DEP_2) | instskip(SKIP_1) | instid1(VALU_DEP_2)
	v_add_co_u32 v76, vcc_lo, v74, s0
	s_wait_alu 0xfffd
	v_add_co_ci_u32_e32 v77, vcc_lo, s1, v75, vcc_lo
	v_mul_f64_e32 v[0:1], s[2:3], v[48:49]
	v_mul_f64_e32 v[2:3], s[2:3], v[2:3]
	;; [unrolled: 1-line block ×24, first 2 shown]
	v_add_co_u32 v48, vcc_lo, v76, s0
	s_wait_alu 0xfffd
	v_add_co_ci_u32_e32 v49, vcc_lo, s1, v77, vcc_lo
	s_delay_alu instid0(VALU_DEP_2) | instskip(SKIP_1) | instid1(VALU_DEP_2)
	v_add_co_u32 v50, vcc_lo, v48, s0
	s_wait_alu 0xfffd
	v_add_co_ci_u32_e32 v51, vcc_lo, s1, v49, vcc_lo
	s_delay_alu instid0(VALU_DEP_2) | instskip(SKIP_1) | instid1(VALU_DEP_2)
	;; [unrolled: 4-line block ×5, first 2 shown]
	v_add_co_u32 v58, vcc_lo, v56, s0
	s_wait_alu 0xfffd
	v_add_co_ci_u32_e32 v59, vcc_lo, s1, v57, vcc_lo
	s_clause 0x4
	global_store_b128 v[96:97], v[0:3], off
	global_store_b128 v[122:123], v[4:7], off
	global_store_b128 v[124:125], v[8:11], off
	global_store_b128 v[72:73], v[12:15], off
	global_store_b128 v[74:75], v[16:19], off
	global_store_b128 v[76:77], v[20:23], off
	global_store_b128 v[48:49], v[24:27], off
	global_store_b128 v[50:51], v[28:31], off
	global_store_b128 v[52:53], v[32:35], off
	global_store_b128 v[54:55], v[36:39], off
	global_store_b128 v[56:57], v[40:43], off
	global_store_b128 v[58:59], v[44:47], off
	global_load_b128 v[0:3], v205, s[12:13] offset:6720
	ds_load_b128 v[4:7], v202 offset:6720
	s_wait_loadcnt_dscnt 0x0
	v_mul_f64_e32 v[8:9], v[6:7], v[2:3]
	v_mul_f64_e32 v[2:3], v[4:5], v[2:3]
	s_delay_alu instid0(VALU_DEP_2) | instskip(NEXT) | instid1(VALU_DEP_2)
	v_fma_f64 v[4:5], v[4:5], v[0:1], v[8:9]
	v_fma_f64 v[2:3], v[0:1], v[6:7], -v[2:3]
	s_delay_alu instid0(VALU_DEP_2) | instskip(NEXT) | instid1(VALU_DEP_2)
	v_mul_f64_e32 v[0:1], s[2:3], v[4:5]
	v_mul_f64_e32 v[2:3], s[2:3], v[2:3]
	v_add_co_u32 v4, vcc_lo, v58, s0
	s_wait_alu 0xfffd
	v_add_co_ci_u32_e32 v5, vcc_lo, s1, v59, vcc_lo
	global_store_b128 v[4:5], v[0:3], off
.LBB0_23:
	s_nop 0
	s_sendmsg sendmsg(MSG_DEALLOC_VGPRS)
	s_endpgm
	.section	.rodata,"a",@progbits
	.p2align	6, 0x0
	.amdhsa_kernel bluestein_single_back_len455_dim1_dp_op_CI_CI
		.amdhsa_group_segment_fixed_size 21840
		.amdhsa_private_segment_fixed_size 0
		.amdhsa_kernarg_size 104
		.amdhsa_user_sgpr_count 2
		.amdhsa_user_sgpr_dispatch_ptr 0
		.amdhsa_user_sgpr_queue_ptr 0
		.amdhsa_user_sgpr_kernarg_segment_ptr 1
		.amdhsa_user_sgpr_dispatch_id 0
		.amdhsa_user_sgpr_private_segment_size 0
		.amdhsa_wavefront_size32 1
		.amdhsa_uses_dynamic_stack 0
		.amdhsa_enable_private_segment 0
		.amdhsa_system_sgpr_workgroup_id_x 1
		.amdhsa_system_sgpr_workgroup_id_y 0
		.amdhsa_system_sgpr_workgroup_id_z 0
		.amdhsa_system_sgpr_workgroup_info 0
		.amdhsa_system_vgpr_workitem_id 0
		.amdhsa_next_free_vgpr 254
		.amdhsa_next_free_sgpr 48
		.amdhsa_reserve_vcc 1
		.amdhsa_float_round_mode_32 0
		.amdhsa_float_round_mode_16_64 0
		.amdhsa_float_denorm_mode_32 3
		.amdhsa_float_denorm_mode_16_64 3
		.amdhsa_fp16_overflow 0
		.amdhsa_workgroup_processor_mode 1
		.amdhsa_memory_ordered 1
		.amdhsa_forward_progress 0
		.amdhsa_round_robin_scheduling 0
		.amdhsa_exception_fp_ieee_invalid_op 0
		.amdhsa_exception_fp_denorm_src 0
		.amdhsa_exception_fp_ieee_div_zero 0
		.amdhsa_exception_fp_ieee_overflow 0
		.amdhsa_exception_fp_ieee_underflow 0
		.amdhsa_exception_fp_ieee_inexact 0
		.amdhsa_exception_int_div_zero 0
	.end_amdhsa_kernel
	.text
.Lfunc_end0:
	.size	bluestein_single_back_len455_dim1_dp_op_CI_CI, .Lfunc_end0-bluestein_single_back_len455_dim1_dp_op_CI_CI
                                        ; -- End function
	.section	.AMDGPU.csdata,"",@progbits
; Kernel info:
; codeLenInByte = 14616
; NumSgprs: 50
; NumVgprs: 254
; ScratchSize: 0
; MemoryBound: 0
; FloatMode: 240
; IeeeMode: 1
; LDSByteSize: 21840 bytes/workgroup (compile time only)
; SGPRBlocks: 6
; VGPRBlocks: 31
; NumSGPRsForWavesPerEU: 50
; NumVGPRsForWavesPerEU: 254
; Occupancy: 5
; WaveLimiterHint : 1
; COMPUTE_PGM_RSRC2:SCRATCH_EN: 0
; COMPUTE_PGM_RSRC2:USER_SGPR: 2
; COMPUTE_PGM_RSRC2:TRAP_HANDLER: 0
; COMPUTE_PGM_RSRC2:TGID_X_EN: 1
; COMPUTE_PGM_RSRC2:TGID_Y_EN: 0
; COMPUTE_PGM_RSRC2:TGID_Z_EN: 0
; COMPUTE_PGM_RSRC2:TIDIG_COMP_CNT: 0
	.text
	.p2alignl 7, 3214868480
	.fill 96, 4, 3214868480
	.type	__hip_cuid_60ea8e3b91123594,@object ; @__hip_cuid_60ea8e3b91123594
	.section	.bss,"aw",@nobits
	.globl	__hip_cuid_60ea8e3b91123594
__hip_cuid_60ea8e3b91123594:
	.byte	0                               ; 0x0
	.size	__hip_cuid_60ea8e3b91123594, 1

	.ident	"AMD clang version 19.0.0git (https://github.com/RadeonOpenCompute/llvm-project roc-6.4.0 25133 c7fe45cf4b819c5991fe208aaa96edf142730f1d)"
	.section	".note.GNU-stack","",@progbits
	.addrsig
	.addrsig_sym __hip_cuid_60ea8e3b91123594
	.amdgpu_metadata
---
amdhsa.kernels:
  - .args:
      - .actual_access:  read_only
        .address_space:  global
        .offset:         0
        .size:           8
        .value_kind:     global_buffer
      - .actual_access:  read_only
        .address_space:  global
        .offset:         8
        .size:           8
        .value_kind:     global_buffer
      - .actual_access:  read_only
        .address_space:  global
        .offset:         16
        .size:           8
        .value_kind:     global_buffer
      - .actual_access:  read_only
        .address_space:  global
        .offset:         24
        .size:           8
        .value_kind:     global_buffer
      - .actual_access:  read_only
        .address_space:  global
        .offset:         32
        .size:           8
        .value_kind:     global_buffer
      - .offset:         40
        .size:           8
        .value_kind:     by_value
      - .address_space:  global
        .offset:         48
        .size:           8
        .value_kind:     global_buffer
      - .address_space:  global
        .offset:         56
        .size:           8
        .value_kind:     global_buffer
      - .address_space:  global
        .offset:         64
        .size:           8
        .value_kind:     global_buffer
      - .address_space:  global
        .offset:         72
        .size:           8
        .value_kind:     global_buffer
      - .offset:         80
        .size:           4
        .value_kind:     by_value
      - .address_space:  global
        .offset:         88
        .size:           8
        .value_kind:     global_buffer
      - .address_space:  global
        .offset:         96
        .size:           8
        .value_kind:     global_buffer
    .group_segment_fixed_size: 21840
    .kernarg_segment_align: 8
    .kernarg_segment_size: 104
    .language:       OpenCL C
    .language_version:
      - 2
      - 0
    .max_flat_workgroup_size: 195
    .name:           bluestein_single_back_len455_dim1_dp_op_CI_CI
    .private_segment_fixed_size: 0
    .sgpr_count:     50
    .sgpr_spill_count: 0
    .symbol:         bluestein_single_back_len455_dim1_dp_op_CI_CI.kd
    .uniform_work_group_size: 1
    .uses_dynamic_stack: false
    .vgpr_count:     254
    .vgpr_spill_count: 0
    .wavefront_size: 32
    .workgroup_processor_mode: 1
amdhsa.target:   amdgcn-amd-amdhsa--gfx1201
amdhsa.version:
  - 1
  - 2
...

	.end_amdgpu_metadata
